;; amdgpu-corpus repo=ROCm/rocFFT kind=compiled arch=gfx906 opt=O3
	.text
	.amdgcn_target "amdgcn-amd-amdhsa--gfx906"
	.amdhsa_code_object_version 6
	.protected	bluestein_single_fwd_len540_dim1_dp_op_CI_CI ; -- Begin function bluestein_single_fwd_len540_dim1_dp_op_CI_CI
	.globl	bluestein_single_fwd_len540_dim1_dp_op_CI_CI
	.p2align	8
	.type	bluestein_single_fwd_len540_dim1_dp_op_CI_CI,@function
bluestein_single_fwd_len540_dim1_dp_op_CI_CI: ; @bluestein_single_fwd_len540_dim1_dp_op_CI_CI
; %bb.0:
	s_load_dwordx4 s[12:15], s[4:5], 0x28
	v_mul_u32_u24_e32 v1, 0x4be, v0
	v_lshrrev_b32_e32 v40, 16, v1
	v_lshl_add_u32 v196, s6, 2, v40
	v_mov_b32_e32 v197, 0
	s_waitcnt lgkmcnt(0)
	v_cmp_gt_u64_e32 vcc, s[12:13], v[196:197]
	s_and_saveexec_b64 s[0:1], vcc
	s_cbranch_execz .LBB0_31
; %bb.1:
	s_load_dwordx4 s[0:3], s[4:5], 0x18
	s_load_dwordx2 s[12:13], s[4:5], 0x0
	v_mul_lo_u16_e32 v1, 54, v40
	v_sub_u16_e32 v198, v0, v1
	v_lshlrev_b32_e32 v208, 4, v198
	s_waitcnt lgkmcnt(0)
	s_load_dwordx4 s[8:11], s[0:1], 0x0
	v_and_b32_e32 v40, 3, v40
	v_mul_u32_u24_e32 v209, 0x21c, v40
	v_lshlrev_b32_e32 v199, 4, v209
	v_add_u32_e32 v197, v199, v208
	s_waitcnt lgkmcnt(0)
	v_mad_u64_u32 v[0:1], s[0:1], s10, v196, 0
	v_mad_u64_u32 v[2:3], s[0:1], s8, v198, 0
	s_load_dwordx2 s[6:7], s[4:5], 0x38
	v_mad_u64_u32 v[4:5], s[0:1], s11, v196, v[1:2]
	v_mad_u64_u32 v[5:6], s[0:1], s9, v198, v[3:4]
	v_mov_b32_e32 v1, v4
	v_lshlrev_b64 v[0:1], 4, v[0:1]
	v_mov_b32_e32 v6, s15
	v_mov_b32_e32 v3, v5
	v_add_co_u32_e32 v4, vcc, s14, v0
	v_addc_co_u32_e32 v5, vcc, v6, v1, vcc
	v_lshlrev_b64 v[0:1], 4, v[2:3]
	v_add_co_u32_e32 v4, vcc, v4, v0
	v_addc_co_u32_e32 v5, vcc, v5, v1, vcc
	v_mov_b32_e32 v0, s13
	v_add_co_u32_e32 v194, vcc, s12, v208
	v_addc_co_u32_e64 v195, s[0:1], 0, v0, vcc
	s_mul_i32 s0, s9, 0xb4
	s_mul_hi_u32 s1, s8, 0xb4
	s_add_i32 s1, s1, s0
	s_mul_i32 s0, s8, 0xb4
	s_lshl_b64 s[14:15], s[0:1], 4
	v_mov_b32_e32 v30, s15
	v_add_co_u32_e64 v6, s[0:1], s14, v4
	v_addc_co_u32_e64 v7, s[0:1], v5, v30, s[0:1]
	v_add_co_u32_e64 v8, s[0:1], s14, v6
	v_addc_co_u32_e64 v9, s[0:1], v7, v30, s[0:1]
	s_movk_i32 s0, 0x1000
	v_add_co_u32_e64 v36, s[0:1], s0, v194
	v_addc_co_u32_e64 v37, s[0:1], 0, v195, s[0:1]
	global_load_dwordx4 v[41:44], v[4:5], off
	global_load_dwordx4 v[45:48], v[6:7], off
	global_load_dwordx4 v[0:3], v208, s[12:13] offset:2880
	global_load_dwordx4 v[49:52], v[8:9], off
	s_mul_hi_u32 s1, s8, 0xfffffece
	global_load_dwordx4 v[4:7], v[36:37], off offset:1664
	global_load_dwordx4 v[32:35], v208, s[12:13]
	global_load_dwordx4 v[12:15], v208, s[12:13] offset:864
	s_mul_i32 s0, s9, 0xfffffece
	s_sub_i32 s1, s1, s8
	s_add_i32 s1, s1, s0
	s_mul_i32 s0, s8, 0xfffffece
	s_lshl_b64 s[16:17], s[0:1], 4
	v_mov_b32_e32 v25, s17
	v_add_co_u32_e64 v16, s[0:1], s16, v8
	v_addc_co_u32_e64 v17, s[0:1], v9, v25, s[0:1]
	v_add_co_u32_e64 v18, s[0:1], s14, v16
	v_addc_co_u32_e64 v19, s[0:1], v17, v30, s[0:1]
	global_load_dwordx4 v[53:56], v[16:17], off
	global_load_dwordx4 v[57:60], v[18:19], off
	global_load_dwordx4 v[8:11], v208, s[12:13] offset:3744
	v_add_co_u32_e64 v16, s[0:1], s14, v18
	v_addc_co_u32_e64 v17, s[0:1], v19, v30, s[0:1]
	v_add_co_u32_e64 v24, s[0:1], s16, v16
	v_addc_co_u32_e64 v25, s[0:1], v17, v25, s[0:1]
	global_load_dwordx4 v[61:64], v[16:17], off
	global_load_dwordx4 v[20:23], v[36:37], off offset:2528
	v_add_co_u32_e64 v28, s[0:1], s14, v24
	global_load_dwordx4 v[65:68], v[24:25], off
	global_load_dwordx4 v[16:19], v208, s[12:13] offset:1728
	v_addc_co_u32_e64 v29, s[0:1], v25, v30, s[0:1]
	global_load_dwordx4 v[69:72], v[28:29], off
	global_load_dwordx4 v[24:27], v[36:37], off offset:512
	v_add_co_u32_e64 v38, s[0:1], s14, v28
	v_addc_co_u32_e64 v39, s[0:1], v29, v30, s[0:1]
	global_load_dwordx4 v[28:31], v[36:37], off offset:3392
	global_load_dwordx4 v[73:76], v[38:39], off
	s_load_dwordx4 s[8:11], s[2:3], 0x0
	v_cmp_gt_u16_e64 s[0:1], 18, v198
	s_waitcnt vmcnt(15)
	v_mul_f64 v[81:82], v[47:48], v[2:3]
	s_waitcnt vmcnt(12)
	v_mul_f64 v[77:78], v[43:44], v[34:35]
	v_mul_f64 v[79:80], v[41:42], v[34:35]
	;; [unrolled: 1-line block ×3, first 2 shown]
	v_fma_f64 v[40:41], v[41:42], v[32:33], v[77:78]
	v_fma_f64 v[42:43], v[43:44], v[32:33], -v[79:80]
	v_mul_f64 v[77:78], v[45:46], v[2:3]
	v_mul_f64 v[79:80], v[51:52], v[6:7]
	s_waitcnt vmcnt(10)
	v_mul_f64 v[85:86], v[55:56], v[14:15]
	v_mul_f64 v[87:88], v[53:54], v[14:15]
	s_waitcnt vmcnt(8)
	v_mul_f64 v[89:90], v[59:60], v[10:11]
	v_mul_f64 v[91:92], v[57:58], v[10:11]
	ds_write_b128 v197, v[40:43]
	v_fma_f64 v[40:41], v[45:46], v[0:1], v[81:82]
	v_fma_f64 v[42:43], v[47:48], v[0:1], -v[77:78]
	v_fma_f64 v[44:45], v[49:50], v[4:5], v[79:80]
	v_fma_f64 v[46:47], v[51:52], v[4:5], -v[83:84]
	;; [unrolled: 2-line block ×4, first 2 shown]
	s_waitcnt vmcnt(6)
	v_mul_f64 v[56:57], v[63:64], v[22:23]
	v_mul_f64 v[58:59], v[61:62], v[22:23]
	s_waitcnt vmcnt(4)
	v_mul_f64 v[77:78], v[67:68], v[18:19]
	v_mul_f64 v[79:80], v[65:66], v[18:19]
	;; [unrolled: 3-line block ×3, first 2 shown]
	v_fma_f64 v[56:57], v[61:62], v[20:21], v[56:57]
	s_waitcnt vmcnt(0)
	v_mul_f64 v[85:86], v[75:76], v[30:31]
	v_mul_f64 v[87:88], v[73:74], v[30:31]
	v_fma_f64 v[58:59], v[63:64], v[20:21], -v[58:59]
	v_fma_f64 v[60:61], v[65:66], v[16:17], v[77:78]
	v_fma_f64 v[62:63], v[67:68], v[16:17], -v[79:80]
	v_fma_f64 v[64:65], v[69:70], v[24:25], v[81:82]
	;; [unrolled: 2-line block ×3, first 2 shown]
	v_fma_f64 v[70:71], v[75:76], v[28:29], -v[87:88]
	ds_write_b128 v197, v[40:43] offset:2880
	ds_write_b128 v197, v[44:47] offset:5760
	;; [unrolled: 1-line block ×8, first 2 shown]
	s_and_saveexec_b64 s[18:19], s[0:1]
	s_cbranch_execz .LBB0_3
; %bb.2:
	v_mov_b32_e32 v40, s17
	v_add_co_u32_e64 v42, s[2:3], s16, v38
	v_addc_co_u32_e64 v43, s[2:3], v39, v40, s[2:3]
	v_mov_b32_e32 v56, s15
	v_add_co_u32_e64 v54, s[2:3], s14, v42
	v_addc_co_u32_e64 v55, s[2:3], v43, v56, s[2:3]
	global_load_dwordx4 v[38:41], v[42:43], off
	s_nop 0
	global_load_dwordx4 v[42:45], v[54:55], off
	global_load_dwordx4 v[46:49], v[194:195], off offset:2592
	global_load_dwordx4 v[50:53], v[36:37], off offset:1376
	v_add_co_u32_e64 v36, s[2:3], s14, v54
	v_addc_co_u32_e64 v37, s[2:3], v55, v56, s[2:3]
	s_movk_i32 s2, 0x2000
	v_add_co_u32_e64 v62, s[2:3], s2, v194
	v_addc_co_u32_e64 v63, s[2:3], 0, v195, s[2:3]
	global_load_dwordx4 v[54:57], v[62:63], off offset:160
	global_load_dwordx4 v[58:61], v[36:37], off
	s_waitcnt vmcnt(3)
	v_mul_f64 v[36:37], v[40:41], v[48:49]
	v_mul_f64 v[48:49], v[38:39], v[48:49]
	s_waitcnt vmcnt(2)
	v_mul_f64 v[62:63], v[44:45], v[52:53]
	v_mul_f64 v[52:53], v[42:43], v[52:53]
	v_fma_f64 v[36:37], v[38:39], v[46:47], v[36:37]
	v_fma_f64 v[38:39], v[40:41], v[46:47], -v[48:49]
	v_fma_f64 v[40:41], v[42:43], v[50:51], v[62:63]
	s_waitcnt vmcnt(0)
	v_mul_f64 v[64:65], v[60:61], v[56:57]
	v_mul_f64 v[56:57], v[58:59], v[56:57]
	v_fma_f64 v[42:43], v[44:45], v[50:51], -v[52:53]
	v_fma_f64 v[44:45], v[58:59], v[54:55], v[64:65]
	v_fma_f64 v[46:47], v[60:61], v[54:55], -v[56:57]
	ds_write_b128 v197, v[36:39] offset:2592
	ds_write_b128 v197, v[40:43] offset:5472
	;; [unrolled: 1-line block ×3, first 2 shown]
.LBB0_3:
	s_or_b64 exec, exec, s[18:19]
	s_waitcnt lgkmcnt(0)
	s_barrier
	ds_read_b128 v[76:79], v197
	ds_read_b128 v[64:67], v197 offset:864
	ds_read_b128 v[68:71], v197 offset:5760
	;; [unrolled: 1-line block ×8, first 2 shown]
	s_load_dwordx2 s[14:15], s[4:5], 0x8
                                        ; implicit-def: $vgpr36_vgpr37
                                        ; implicit-def: $vgpr40_vgpr41
                                        ; implicit-def: $vgpr44_vgpr45
	s_and_saveexec_b64 s[2:3], s[0:1]
	s_cbranch_execz .LBB0_5
; %bb.4:
	ds_read_b128 v[36:39], v197 offset:2592
	ds_read_b128 v[40:43], v197 offset:5472
	;; [unrolled: 1-line block ×3, first 2 shown]
.LBB0_5:
	s_or_b64 exec, exec, s[2:3]
	s_waitcnt lgkmcnt(0)
	v_add_f64 v[84:85], v[80:81], v[68:69]
	v_add_f64 v[86:87], v[76:77], v[80:81]
	v_add_f64 v[90:91], v[82:83], -v[70:71]
	v_add_f64 v[92:93], v[82:83], v[70:71]
	v_add_f64 v[82:83], v[78:79], v[82:83]
	;; [unrolled: 1-line block ×3, first 2 shown]
	v_add_co_u32_e64 v213, s[2:3], 54, v198
	v_fma_f64 v[88:89], v[84:85], -0.5, v[76:77]
	v_add_f64 v[76:77], v[86:87], v[68:69]
	v_add_f64 v[86:87], v[72:73], v[60:61]
	s_movk_i32 s2, 0x6c
	s_movk_i32 s4, 0xa2
	v_add_co_u32_e64 v212, s[2:3], s2, v198
	v_add_co_u32_e64 v210, s[2:3], s4, v198
	v_addc_co_u32_e64 v211, s[2:3], 0, 0, s[2:3]
	s_mov_b32 s2, 0xe8584caa
	s_mov_b32 s3, 0x3febb67a
	;; [unrolled: 1-line block ×4, first 2 shown]
	v_fma_f64 v[84:85], v[90:91], s[2:3], v[88:89]
	v_fma_f64 v[92:93], v[92:93], -0.5, v[78:79]
	v_add_f64 v[80:81], v[80:81], -v[68:69]
	v_fma_f64 v[68:69], v[90:91], s[4:5], v[88:89]
	v_add_f64 v[88:89], v[64:65], v[72:73]
	v_fma_f64 v[90:91], v[86:87], -0.5, v[64:65]
	v_add_f64 v[96:97], v[74:75], -v[62:63]
	v_add_f64 v[78:79], v[82:83], v[70:71]
	v_add_f64 v[74:75], v[66:67], v[74:75]
	v_fma_f64 v[82:83], v[94:95], -0.5, v[66:67]
	v_add_f64 v[94:95], v[72:73], -v[60:61]
	v_fma_f64 v[86:87], v[80:81], s[4:5], v[92:93]
	v_fma_f64 v[70:71], v[80:81], s[2:3], v[92:93]
	v_add_f64 v[60:61], v[88:89], v[60:61]
	v_fma_f64 v[64:65], v[96:97], s[2:3], v[90:91]
	v_fma_f64 v[72:73], v[96:97], s[4:5], v[90:91]
	v_add_f64 v[88:89], v[56:57], v[48:49]
	v_add_f64 v[62:63], v[74:75], v[62:63]
	v_fma_f64 v[66:67], v[94:95], s[4:5], v[82:83]
	v_add_f64 v[90:91], v[58:59], v[50:51]
	v_fma_f64 v[74:75], v[94:95], s[2:3], v[82:83]
	v_add_f64 v[82:83], v[40:41], v[44:45]
	v_add_f64 v[92:93], v[42:43], v[46:47]
	;; [unrolled: 1-line block ×3, first 2 shown]
	v_fma_f64 v[52:53], v[88:89], -0.5, v[52:53]
	v_add_f64 v[88:89], v[58:59], -v[50:51]
	v_add_f64 v[58:59], v[54:55], v[58:59]
	v_fma_f64 v[54:55], v[90:91], -0.5, v[54:55]
	v_add_f64 v[94:95], v[42:43], -v[46:47]
	v_fma_f64 v[90:91], v[82:83], -0.5, v[36:37]
	v_fma_f64 v[92:93], v[92:93], -0.5, v[38:39]
	v_add_f64 v[96:97], v[40:41], -v[44:45]
	v_add_f64 v[56:57], v[56:57], -v[48:49]
	v_add_f64 v[80:81], v[80:81], v[48:49]
	v_add_f64 v[82:83], v[58:59], v[50:51]
	v_fma_f64 v[48:49], v[88:89], s[2:3], v[52:53]
	v_fma_f64 v[52:53], v[88:89], s[4:5], v[52:53]
	;; [unrolled: 1-line block ×8, first 2 shown]
	v_mul_lo_u16_e32 v56, 3, v198
	v_lshl_add_u32 v202, v56, 4, v199
	v_mul_u32_u24_e32 v56, 3, v213
	v_lshl_add_u32 v203, v56, 4, v199
	v_mul_u32_u24_e32 v56, 3, v212
	;; [unrolled: 2-line block ×3, first 2 shown]
	s_barrier
	ds_write_b128 v202, v[76:79]
	ds_write_b128 v202, v[84:87] offset:16
	ds_write_b128 v202, v[68:71] offset:32
	ds_write_b128 v203, v[60:63]
	ds_write_b128 v203, v[64:67] offset:16
	ds_write_b128 v203, v[72:75] offset:32
	;; [unrolled: 3-line block ×3, first 2 shown]
	s_and_saveexec_b64 s[2:3], s[0:1]
	s_cbranch_execz .LBB0_7
; %bb.6:
	v_add_f64 v[38:39], v[38:39], v[42:43]
	v_add_f64 v[36:37], v[36:37], v[40:41]
	v_lshl_add_u32 v40, v205, 4, v199
	v_add_f64 v[38:39], v[38:39], v[46:47]
	v_add_f64 v[36:37], v[36:37], v[44:45]
	ds_write_b128 v40, v[100:103] offset:16
	ds_write_b128 v40, v[36:39]
	ds_write_b128 v40, v[104:107] offset:32
.LBB0_7:
	s_or_b64 exec, exec, s[2:3]
	s_movk_i32 s2, 0xab
	v_mul_lo_u16_sdwa v36, v198, s2 dst_sel:DWORD dst_unused:UNUSED_PAD src0_sel:BYTE_0 src1_sel:DWORD
	v_lshrrev_b16_e32 v166, 9, v36
	v_mul_lo_u16_e32 v36, 3, v166
	v_sub_u16_e32 v36, v198, v36
	v_and_b32_e32 v167, 0xff, v36
	v_mov_b32_e32 v37, s15
	s_movk_i32 s2, 0x90
	v_mov_b32_e32 v36, s14
	v_mad_u64_u32 v[72:73], s[2:3], v167, s2, v[36:37]
	s_waitcnt lgkmcnt(0)
	s_barrier
	global_load_dwordx4 v[52:55], v[72:73], off
	global_load_dwordx4 v[44:47], v[72:73], off offset:16
	global_load_dwordx4 v[40:43], v[72:73], off offset:32
	;; [unrolled: 1-line block ×8, first 2 shown]
	ds_read_b128 v[72:75], v197
	ds_read_b128 v[76:79], v197 offset:864
	ds_read_b128 v[80:83], v197 offset:1728
	;; [unrolled: 1-line block ×9, first 2 shown]
	s_mov_b32 s2, 0x134454ff
	s_mov_b32 s3, 0x3fee6f0e
	;; [unrolled: 1-line block ×12, first 2 shown]
	s_waitcnt vmcnt(0) lgkmcnt(0)
	s_barrier
	v_mul_f64 v[120:121], v[78:79], v[54:55]
	v_mul_f64 v[124:125], v[82:83], v[46:47]
	v_mul_f64 v[126:127], v[80:81], v[46:47]
	v_mul_f64 v[132:133], v[90:91], v[38:39]
	v_mul_f64 v[134:135], v[88:89], v[38:39]
	v_mul_f64 v[140:141], v[98:99], v[58:59]
	v_mul_f64 v[142:143], v[96:97], v[58:59]
	v_mul_f64 v[148:149], v[114:115], v[62:63]
	v_mul_f64 v[122:123], v[76:77], v[54:55]
	v_mul_f64 v[128:129], v[86:87], v[42:43]
	v_mul_f64 v[130:131], v[84:85], v[42:43]
	v_mul_f64 v[136:137], v[94:95], v[66:67]
	v_mul_f64 v[138:139], v[92:93], v[66:67]
	v_mul_f64 v[144:145], v[110:111], v[50:51]
	v_mul_f64 v[150:151], v[112:113], v[62:63]
	v_fma_f64 v[80:81], v[80:81], v[44:45], -v[124:125]
	v_fma_f64 v[82:83], v[82:83], v[44:45], v[126:127]
	v_fma_f64 v[88:89], v[88:89], v[36:37], -v[132:133]
	v_fma_f64 v[90:91], v[90:91], v[36:37], v[134:135]
	;; [unrolled: 2-line block ×3, first 2 shown]
	v_fma_f64 v[112:113], v[112:113], v[60:61], -v[148:149]
	v_mul_f64 v[146:147], v[108:109], v[50:51]
	v_mul_f64 v[154:155], v[116:117], v[70:71]
	v_fma_f64 v[76:77], v[76:77], v[52:53], -v[120:121]
	v_fma_f64 v[78:79], v[78:79], v[52:53], v[122:123]
	v_fma_f64 v[84:85], v[84:85], v[40:41], -v[128:129]
	v_fma_f64 v[86:87], v[86:87], v[40:41], v[130:131]
	;; [unrolled: 2-line block ×3, first 2 shown]
	v_fma_f64 v[114:115], v[114:115], v[60:61], v[150:151]
	v_fma_f64 v[108:109], v[108:109], v[48:49], -v[144:145]
	v_add_f64 v[120:121], v[72:73], v[80:81]
	v_add_f64 v[122:123], v[88:89], v[96:97]
	v_add_f64 v[128:129], v[80:81], -v[88:89]
	v_add_f64 v[130:131], v[112:113], -v[96:97]
	v_add_f64 v[132:133], v[80:81], v[112:113]
	v_add_f64 v[138:139], v[74:75], v[82:83]
	;; [unrolled: 1-line block ×3, first 2 shown]
	v_mul_f64 v[152:153], v[118:119], v[70:71]
	v_fma_f64 v[118:119], v[118:119], v[68:69], v[154:155]
	v_add_f64 v[124:125], v[82:83], -v[114:115]
	v_add_f64 v[126:127], v[90:91], -v[98:99]
	;; [unrolled: 1-line block ×7, first 2 shown]
	v_add_f64 v[148:149], v[82:83], v[114:115]
	v_add_f64 v[82:83], v[90:91], -v[82:83]
	v_add_f64 v[154:155], v[92:93], v[108:109]
	v_add_f64 v[88:89], v[120:121], v[88:89]
	v_fma_f64 v[120:121], v[122:123], -0.5, v[72:73]
	v_add_f64 v[122:123], v[128:129], v[130:131]
	v_fma_f64 v[72:73], v[132:133], -0.5, v[72:73]
	;; [unrolled: 2-line block ×3, first 2 shown]
	v_fma_f64 v[110:111], v[110:111], v[48:49], v[146:147]
	v_fma_f64 v[116:117], v[116:117], v[68:69], -v[152:153]
	v_add_f64 v[146:147], v[114:115], -v[98:99]
	v_add_f64 v[150:151], v[98:99], -v[114:115]
	v_add_f64 v[152:153], v[76:77], v[84:85]
	v_add_f64 v[156:157], v[86:87], -v[118:119]
	v_add_f64 v[128:129], v[134:135], v[136:137]
	v_fma_f64 v[74:75], v[148:149], -0.5, v[74:75]
	v_fma_f64 v[136:137], v[154:155], -0.5, v[76:77]
	v_add_f64 v[88:89], v[88:89], v[96:97]
	v_fma_f64 v[96:97], v[124:125], s[2:3], v[120:121]
	v_fma_f64 v[138:139], v[126:127], s[18:19], v[72:73]
	;; [unrolled: 1-line block ×3, first 2 shown]
	v_add_f64 v[90:91], v[90:91], v[98:99]
	v_fma_f64 v[98:99], v[80:81], s[18:19], v[130:131]
	v_fma_f64 v[130:131], v[80:81], s[2:3], v[130:131]
	v_add_f64 v[158:159], v[94:95], -v[110:111]
	v_add_f64 v[160:161], v[84:85], -v[92:93]
	;; [unrolled: 1-line block ×3, first 2 shown]
	v_add_f64 v[164:165], v[84:85], v[116:117]
	v_add_f64 v[132:133], v[144:145], v[146:147]
	;; [unrolled: 1-line block ×3, first 2 shown]
	v_fma_f64 v[120:121], v[124:125], s[18:19], v[120:121]
	v_fma_f64 v[140:141], v[142:143], s[2:3], v[74:75]
	;; [unrolled: 1-line block ×4, first 2 shown]
	v_add_f64 v[112:113], v[88:89], v[112:113]
	v_fma_f64 v[88:89], v[126:127], s[4:5], v[96:97]
	v_fma_f64 v[72:73], v[124:125], s[20:21], v[72:73]
	v_add_f64 v[114:115], v[90:91], v[114:115]
	v_fma_f64 v[90:91], v[142:143], s[4:5], v[130:131]
	v_fma_f64 v[96:97], v[126:127], s[20:21], v[120:121]
	;; [unrolled: 1-line block ×7, first 2 shown]
	v_add_f64 v[72:73], v[82:83], v[150:151]
	v_fma_f64 v[138:139], v[132:133], s[16:17], v[90:91]
	v_fma_f64 v[76:77], v[164:165], -0.5, v[76:77]
	v_fma_f64 v[74:75], v[80:81], s[4:5], v[74:75]
	v_add_f64 v[80:81], v[134:135], v[108:109]
	v_fma_f64 v[82:83], v[158:159], s[4:5], v[144:145]
	v_add_f64 v[88:89], v[160:161], v[162:163]
	v_add_f64 v[90:91], v[94:95], v[110:111]
	v_fma_f64 v[96:97], v[122:123], s[16:17], v[96:97]
	v_fma_f64 v[122:123], v[128:129], s[16:17], v[120:121]
	;; [unrolled: 1-line block ×7, first 2 shown]
	v_add_f64 v[132:133], v[80:81], v[116:117]
	v_add_f64 v[72:73], v[86:87], v[118:119]
	v_fma_f64 v[74:75], v[88:89], s[16:17], v[82:83]
	v_fma_f64 v[80:81], v[90:91], -0.5, v[78:79]
	v_add_f64 v[82:83], v[84:85], -v[116:117]
	v_fma_f64 v[90:91], v[158:159], s[20:21], v[120:121]
	v_fma_f64 v[120:121], v[156:157], s[4:5], v[128:129]
	v_add_f64 v[128:129], v[78:79], v[86:87]
	v_add_f64 v[136:137], v[92:93], -v[108:109]
	v_fma_f64 v[72:73], v[72:73], -0.5, v[78:79]
	v_add_f64 v[78:79], v[92:93], -v[84:85]
	v_add_f64 v[84:85], v[108:109], -v[116:117]
	v_fma_f64 v[92:93], v[82:83], s[18:19], v[80:81]
	v_add_f64 v[108:109], v[86:87], -v[94:95]
	v_add_f64 v[116:117], v[118:119], -v[110:111]
	v_fma_f64 v[76:77], v[158:159], s[2:3], v[76:77]
	v_fma_f64 v[80:81], v[82:83], s[2:3], v[80:81]
	v_add_f64 v[128:129], v[128:129], v[94:95]
	v_fma_f64 v[140:141], v[136:137], s[2:3], v[72:73]
	v_add_f64 v[86:87], v[94:95], -v[86:87]
	v_fma_f64 v[92:93], v[136:137], s[20:21], v[92:93]
	v_add_f64 v[94:95], v[110:111], -v[118:119]
	v_add_f64 v[108:109], v[108:109], v[116:117]
	v_fma_f64 v[72:73], v[136:137], s[18:19], v[72:73]
	v_add_f64 v[78:79], v[78:79], v[84:85]
	v_fma_f64 v[76:77], v[156:157], s[20:21], v[76:77]
	v_fma_f64 v[80:81], v[136:137], s[4:5], v[80:81]
	;; [unrolled: 1-line block ×3, first 2 shown]
	v_add_f64 v[86:87], v[86:87], v[94:95]
	v_fma_f64 v[92:93], v[108:109], s[16:17], v[92:93]
	v_fma_f64 v[72:73], v[82:83], s[4:5], v[72:73]
	;; [unrolled: 1-line block ×6, first 2 shown]
	v_add_f64 v[94:95], v[128:129], v[110:111]
	v_fma_f64 v[84:85], v[86:87], s[16:17], v[84:85]
	v_mul_f64 v[80:81], v[92:93], s[4:5]
	v_fma_f64 v[86:87], v[86:87], s[16:17], v[72:73]
	v_mul_f64 v[110:111], v[82:83], s[22:23]
	v_add_f64 v[72:73], v[112:113], v[132:133]
	v_mul_f64 v[108:109], v[78:79], s[16:17]
	v_mul_f64 v[120:121], v[76:77], s[22:23]
	v_add_f64 v[94:95], v[94:95], v[118:119]
	v_mul_f64 v[90:91], v[84:85], s[2:3]
	v_fma_f64 v[116:117], v[74:75], s[22:23], v[80:81]
	v_mul_f64 v[74:75], v[74:75], s[20:21]
	v_mul_f64 v[80:81], v[88:89], s[18:19]
	;; [unrolled: 1-line block ×3, first 2 shown]
	v_fma_f64 v[108:109], v[86:87], s[2:3], -v[108:109]
	v_fma_f64 v[110:111], v[76:77], s[4:5], -v[110:111]
	;; [unrolled: 1-line block ×3, first 2 shown]
	v_fma_f64 v[128:129], v[88:89], s[16:17], v[90:91]
	v_add_f64 v[76:77], v[126:127], v[116:117]
	v_fma_f64 v[140:141], v[92:93], s[22:23], v[74:75]
	v_fma_f64 v[142:143], v[84:85], s[16:17], v[80:81]
	v_fma_f64 v[118:119], v[78:79], s[18:19], -v[118:119]
	v_add_f64 v[74:75], v[114:115], v[94:95]
	v_add_f64 v[84:85], v[130:131], v[108:109]
	v_add_f64 v[88:89], v[96:97], v[110:111]
	v_add_f64 v[80:81], v[122:123], v[128:129]
	v_add_f64 v[90:91], v[138:139], v[144:145]
	v_add_f64 v[78:79], v[98:99], v[140:141]
	v_add_f64 v[82:83], v[124:125], v[142:143]
	v_add_f64 v[86:87], v[134:135], v[118:119]
	v_add_f64 v[92:93], v[112:113], -v[132:133]
	v_add_f64 v[136:137], v[96:97], -v[110:111]
	;; [unrolled: 1-line block ×3, first 2 shown]
	v_mul_u32_u24_e32 v96, 30, v166
	v_add_f64 v[120:121], v[126:127], -v[116:117]
	v_add_f64 v[128:129], v[122:123], -v[128:129]
	;; [unrolled: 1-line block ×3, first 2 shown]
	v_add_u32_e32 v96, v96, v167
	v_add_f64 v[132:133], v[130:131], -v[108:109]
	v_add_f64 v[130:131], v[124:125], -v[142:143]
	v_lshl_add_u32 v206, v96, 4, v199
	v_add_f64 v[134:135], v[134:135], -v[118:119]
	v_add_f64 v[138:139], v[138:139], -v[144:145]
	ds_write_b128 v206, v[72:75]
	ds_write_b128 v206, v[76:79] offset:48
	ds_write_b128 v206, v[80:83] offset:96
	;; [unrolled: 1-line block ×9, first 2 shown]
	s_waitcnt lgkmcnt(0)
	s_barrier
	ds_read_b128 v[124:127], v197
	ds_read_b128 v[156:159], v197 offset:1440
	ds_read_b128 v[152:155], v197 offset:2880
	;; [unrolled: 1-line block ×5, first 2 shown]
	v_cmp_gt_u16_e64 s[2:3], 36, v198
	s_and_saveexec_b64 s[4:5], s[2:3]
	s_cbranch_execz .LBB0_9
; %bb.8:
	ds_read_b128 v[120:123], v197 offset:864
	ds_read_b128 v[128:131], v197 offset:2304
	;; [unrolled: 1-line block ×6, first 2 shown]
.LBB0_9:
	s_or_b64 exec, exec, s[4:5]
	v_subrev_u32_e32 v72, 30, v198
	v_cmp_gt_u16_e64 s[4:5], 30, v198
	v_cndmask_b32_e64 v207, v72, v198, s[4:5]
	v_mul_i32_i24_e32 v73, 0x50, v207
	v_mul_hi_i32_i24_e32 v72, 0x50, v207
	v_mov_b32_e32 v74, s15
	v_add_co_u32_e64 v80, s[4:5], s14, v73
	v_addc_co_u32_e64 v81, s[4:5], v74, v72, s[4:5]
	s_movk_i32 s4, 0x89
	v_mul_lo_u16_sdwa v82, v213, s4 dst_sel:DWORD dst_unused:UNUSED_PAD src0_sel:BYTE_0 src1_sel:DWORD
	v_lshrrev_b16_e32 v200, 12, v82
	v_mul_lo_u16_e32 v82, 30, v200
	v_sub_u16_e32 v82, v213, v82
	global_load_dwordx4 v[72:75], v[80:81], off offset:480
	global_load_dwordx4 v[76:79], v[80:81], off offset:464
	;; [unrolled: 1-line block ×4, first 2 shown]
	v_and_b32_e32 v201, 0xff, v82
	v_mov_b32_e32 v83, s15
	s_movk_i32 s12, 0x50
	v_mov_b32_e32 v82, s14
	v_mad_u64_u32 v[82:83], s[4:5], v201, s12, v[82:83]
	global_load_dwordx4 v[108:111], v[80:81], off offset:496
	global_load_dwordx4 v[116:119], v[82:83], off offset:432
	;; [unrolled: 1-line block ×5, first 2 shown]
	s_nop 0
	global_load_dwordx4 v[80:83], v[82:83], off offset:496
	s_mov_b32 s4, 0xe8584caa
	s_mov_b32 s5, 0x3febb67a
	;; [unrolled: 1-line block ×4, first 2 shown]
	s_waitcnt vmcnt(0) lgkmcnt(0)
	s_barrier
	v_mul_f64 v[172:173], v[146:147], v[74:75]
	v_mul_f64 v[168:169], v[150:151], v[78:79]
	;; [unrolled: 1-line block ×13, first 2 shown]
	v_fma_f64 v[158:159], v[158:159], v[88:89], v[162:163]
	v_fma_f64 v[152:153], v[152:153], v[84:85], -v[164:165]
	v_fma_f64 v[154:155], v[154:155], v[84:85], v[166:167]
	v_fma_f64 v[148:149], v[148:149], v[76:77], -v[168:169]
	;; [unrolled: 2-line block ×3, first 2 shown]
	v_fma_f64 v[140:141], v[140:141], v[108:109], -v[176:177]
	v_fma_f64 v[142:143], v[142:143], v[108:109], v[178:179]
	v_mul_f64 v[184:185], v[134:135], v[114:115]
	v_mul_f64 v[186:187], v[132:133], v[114:115]
	;; [unrolled: 1-line block ×5, first 2 shown]
	v_fma_f64 v[156:157], v[156:157], v[88:89], -v[160:161]
	v_fma_f64 v[146:147], v[146:147], v[72:73], v[174:175]
	v_fma_f64 v[172:173], v[138:139], v[96:97], v[190:191]
	v_fma_f64 v[174:175], v[104:105], v[80:81], -v[216:217]
	v_fma_f64 v[176:177], v[106:107], v[80:81], v[218:219]
	v_add_f64 v[104:105], v[124:125], v[152:153]
	v_add_f64 v[106:107], v[152:153], v[144:145]
	v_add_f64 v[138:139], v[126:127], v[154:155]
	v_add_f64 v[162:163], v[148:149], v[140:141]
	v_add_f64 v[164:165], v[150:151], -v[142:143]
	v_add_f64 v[166:167], v[158:159], v[150:151]
	v_add_f64 v[150:151], v[150:151], v[142:143]
	v_mul_f64 v[180:181], v[130:131], v[118:119]
	v_mul_f64 v[182:183], v[128:129], v[118:119]
	v_fma_f64 v[132:133], v[132:133], v[112:113], -v[184:185]
	v_fma_f64 v[134:135], v[134:135], v[112:113], v[186:187]
	v_fma_f64 v[168:169], v[136:137], v[96:97], -v[188:189]
	v_fma_f64 v[100:101], v[100:101], v[92:93], -v[192:193]
	v_fma_f64 v[102:103], v[102:103], v[92:93], v[214:215]
	v_add_f64 v[136:137], v[154:155], -v[146:147]
	v_add_f64 v[154:155], v[154:155], v[146:147]
	v_add_f64 v[152:153], v[152:153], -v[144:145]
	v_add_f64 v[160:161], v[156:157], v[148:149]
	;; [unrolled: 2-line block ×3, first 2 shown]
	v_fma_f64 v[106:107], v[106:107], -0.5, v[124:125]
	v_add_f64 v[124:125], v[138:139], v[146:147]
	v_fma_f64 v[138:139], v[162:163], -0.5, v[156:157]
	v_fma_f64 v[144:145], v[150:151], -0.5, v[158:159]
	v_fma_f64 v[128:129], v[128:129], v[116:117], -v[180:181]
	v_fma_f64 v[130:131], v[130:131], v[116:117], v[182:183]
	v_add_f64 v[178:179], v[132:133], v[100:101]
	v_add_f64 v[180:181], v[134:135], -v[102:103]
	v_add_f64 v[182:183], v[122:123], v[134:135]
	v_add_f64 v[134:135], v[134:135], v[102:103]
	;; [unrolled: 1-line block ×4, first 2 shown]
	v_fma_f64 v[126:127], v[154:155], -0.5, v[126:127]
	v_fma_f64 v[156:157], v[148:149], s[16:17], v[144:145]
	v_fma_f64 v[158:159], v[164:165], s[16:17], v[138:139]
	v_add_f64 v[170:171], v[120:121], v[132:133]
	v_add_f64 v[186:187], v[172:173], -v[176:177]
	v_add_f64 v[190:191], v[168:169], -v[174:175]
	v_add_f64 v[140:141], v[160:161], v[140:141]
	v_add_f64 v[142:143], v[166:167], v[142:143]
	v_fma_f64 v[120:121], v[178:179], -0.5, v[120:121]
	v_fma_f64 v[122:123], v[134:135], -0.5, v[122:123]
	;; [unrolled: 1-line block ×4, first 2 shown]
	v_fma_f64 v[160:161], v[164:165], s[4:5], v[138:139]
	v_fma_f64 v[144:145], v[148:149], s[4:5], v[144:145]
	;; [unrolled: 1-line block ×4, first 2 shown]
	v_mul_f64 v[126:127], v[156:157], s[4:5]
	v_mul_f64 v[162:163], v[158:159], -0.5
	v_fma_f64 v[150:151], v[136:137], s[4:5], v[106:107]
	v_fma_f64 v[154:155], v[136:137], s[16:17], v[106:107]
	v_add_f64 v[136:137], v[104:105], v[140:141]
	v_add_f64 v[138:139], v[124:125], v[142:143]
	v_mul_f64 v[164:165], v[160:161], s[16:17]
	v_mul_f64 v[166:167], v[144:145], -0.5
	v_add_f64 v[140:141], v[104:105], -v[140:141]
	v_add_f64 v[142:143], v[124:125], -v[142:143]
	v_fma_f64 v[104:105], v[180:181], s[4:5], v[120:121]
	v_fma_f64 v[106:107], v[180:181], s[16:17], v[120:121]
	v_fma_f64 v[120:121], v[160:161], 0.5, v[126:127]
	v_fma_f64 v[124:125], v[144:145], s[4:5], v[162:163]
	v_fma_f64 v[178:179], v[186:187], s[4:5], v[134:135]
	;; [unrolled: 1-line block ×5, first 2 shown]
	v_add_f64 v[132:133], v[132:133], -v[100:101]
	v_add_f64 v[100:101], v[170:171], v[100:101]
	v_fma_f64 v[144:145], v[156:157], 0.5, v[164:165]
	v_fma_f64 v[156:157], v[158:159], s[16:17], v[166:167]
	v_add_f64 v[158:159], v[150:151], v[120:121]
	v_add_f64 v[162:163], v[154:155], v[124:125]
	v_add_f64 v[166:167], v[150:151], -v[120:121]
	v_add_f64 v[170:171], v[154:155], -v[124:125]
	v_add_f64 v[120:121], v[128:129], v[168:169]
	v_mul_f64 v[124:125], v[180:181], s[4:5]
	v_mul_f64 v[128:129], v[134:135], -0.5
	v_add_f64 v[150:151], v[130:131], v[172:173]
	v_mul_f64 v[154:155], v[178:179], s[16:17]
	v_mul_f64 v[168:169], v[146:147], -0.5
	v_add_f64 v[102:103], v[182:183], v[102:103]
	v_fma_f64 v[126:127], v[132:133], s[16:17], v[122:123]
	v_fma_f64 v[130:131], v[132:133], s[4:5], v[122:123]
	v_add_f64 v[120:121], v[120:121], v[174:175]
	v_fma_f64 v[122:123], v[178:179], 0.5, v[124:125]
	v_fma_f64 v[124:125], v[146:147], s[4:5], v[128:129]
	v_add_f64 v[128:129], v[150:151], v[176:177]
	v_fma_f64 v[132:133], v[180:181], 0.5, v[154:155]
	v_fma_f64 v[134:135], v[134:135], s[16:17], v[168:169]
	v_add_f64 v[160:161], v[148:149], v[144:145]
	v_add_f64 v[164:165], v[152:153], v[156:157]
	v_add_f64 v[168:169], v[148:149], -v[144:145]
	v_add_f64 v[172:173], v[152:153], -v[156:157]
	;; [unrolled: 1-line block ×8, first 2 shown]
	v_mov_b32_e32 v144, 0xb4
	v_cmp_lt_u16_e64 s[4:5], 29, v198
	v_cndmask_b32_e64 v144, 0, v144, s[4:5]
	v_add_u32_e32 v144, v207, v144
	v_lshl_add_u32 v207, v144, 4, v199
	ds_write_b128 v207, v[136:139]
	ds_write_b128 v207, v[158:161] offset:480
	ds_write_b128 v207, v[162:165] offset:960
	;; [unrolled: 1-line block ×5, first 2 shown]
	s_and_saveexec_b64 s[4:5], s[2:3]
	s_cbranch_execz .LBB0_11
; %bb.10:
	v_add_f64 v[102:103], v[102:103], v[128:129]
	v_add_f64 v[100:101], v[100:101], v[120:121]
	;; [unrolled: 1-line block ×6, first 2 shown]
	v_mul_u32_u24_e32 v104, 0xb4, v200
	v_add_u32_e32 v104, v104, v201
	v_lshl_add_u32 v104, v104, 4, v199
	ds_write_b128 v104, v[100:103]
	ds_write_b128 v104, v[132:135] offset:480
	ds_write_b128 v104, v[128:131] offset:960
	;; [unrolled: 1-line block ×5, first 2 shown]
.LBB0_11:
	s_or_b64 exec, exec, s[4:5]
	s_waitcnt lgkmcnt(0)
	s_barrier
	ds_read_b128 v[162:165], v197
	ds_read_b128 v[158:161], v197 offset:864
	ds_read_b128 v[178:181], v197 offset:5760
	;; [unrolled: 1-line block ×8, first 2 shown]
	s_and_saveexec_b64 s[4:5], s[0:1]
	s_cbranch_execz .LBB0_13
; %bb.12:
	ds_read_b128 v[146:149], v197 offset:2592
	ds_read_b128 v[150:153], v197 offset:5472
	;; [unrolled: 1-line block ×3, first 2 shown]
.LBB0_13:
	s_or_b64 exec, exec, s[4:5]
	v_lshlrev_b32_e32 v100, 5, v198
	global_load_dwordx4 v[120:123], v100, s[14:15] offset:2848
	global_load_dwordx4 v[124:127], v100, s[14:15] offset:2832
	v_lshlrev_b32_e32 v100, 5, v213
	global_load_dwordx4 v[128:131], v100, s[14:15] offset:2848
	global_load_dwordx4 v[136:139], v100, s[14:15] offset:2832
	v_lshlrev_b32_e32 v100, 5, v212
	s_movk_i32 s4, 0xffee
	global_load_dwordx4 v[132:135], v100, s[14:15] offset:2848
	global_load_dwordx4 v[140:143], v100, s[14:15] offset:2832
	v_add_co_u32_e64 v100, s[4:5], s4, v198
	v_addc_co_u32_e64 v101, s[4:5], 0, -1, s[4:5]
	v_cndmask_b32_e64 v101, v101, v211, s[0:1]
	v_cndmask_b32_e64 v100, v100, v210, s[0:1]
	v_lshlrev_b64 v[100:101], 5, v[100:101]
	v_mov_b32_e32 v102, s15
	v_add_co_u32_e64 v100, s[4:5], s14, v100
	v_addc_co_u32_e64 v101, s[4:5], v102, v101, s[4:5]
	global_load_dwordx4 v[104:107], v[100:101], off offset:2832
	s_nop 0
	global_load_dwordx4 v[100:103], v[100:101], off offset:2848
	v_lshl_add_u32 v208, v209, 4, v208
	s_mov_b32 s4, 0xe8584caa
	s_mov_b32 s5, 0x3febb67a
	;; [unrolled: 1-line block ×4, first 2 shown]
	s_waitcnt vmcnt(7) lgkmcnt(6)
	v_mul_f64 v[211:212], v[180:181], v[122:123]
	s_waitcnt vmcnt(6) lgkmcnt(4)
	v_mul_f64 v[144:145], v[192:193], v[126:127]
	v_mul_f64 v[209:210], v[190:191], v[126:127]
	;; [unrolled: 1-line block ×3, first 2 shown]
	s_waitcnt vmcnt(4) lgkmcnt(2)
	v_mul_f64 v[215:216], v[188:189], v[138:139]
	s_waitcnt vmcnt(3) lgkmcnt(0)
	v_mul_f64 v[227:228], v[176:177], v[134:135]
	s_waitcnt vmcnt(2)
	v_mul_f64 v[223:224], v[184:185], v[142:143]
	v_mul_f64 v[217:218], v[186:187], v[138:139]
	;; [unrolled: 1-line block ×6, first 2 shown]
	v_fma_f64 v[144:145], v[190:191], v[124:125], -v[144:145]
	v_fma_f64 v[190:191], v[192:193], v[124:125], v[209:210]
	v_fma_f64 v[178:179], v[178:179], v[120:121], -v[211:212]
	v_fma_f64 v[180:181], v[180:181], v[120:121], v[213:214]
	v_fma_f64 v[186:187], v[186:187], v[136:137], -v[215:216]
	v_fma_f64 v[182:183], v[182:183], v[140:141], -v[223:224]
	s_waitcnt vmcnt(1)
	v_mul_f64 v[231:232], v[152:153], v[106:107]
	v_mul_f64 v[233:234], v[150:151], v[106:107]
	s_waitcnt vmcnt(0)
	v_mul_f64 v[235:236], v[156:157], v[102:103]
	v_mul_f64 v[237:238], v[154:155], v[102:103]
	v_fma_f64 v[174:175], v[174:175], v[132:133], -v[227:228]
	v_fma_f64 v[188:189], v[188:189], v[136:137], v[217:218]
	v_fma_f64 v[170:171], v[170:171], v[128:129], -v[219:220]
	v_fma_f64 v[172:173], v[172:173], v[128:129], v[221:222]
	;; [unrolled: 2-line block ×4, first 2 shown]
	v_fma_f64 v[184:185], v[184:185], v[140:141], v[225:226]
	v_fma_f64 v[176:177], v[176:177], v[132:133], v[229:230]
	v_add_f64 v[154:155], v[162:163], v[144:145]
	v_add_f64 v[156:157], v[144:145], v[178:179]
	v_add_f64 v[211:212], v[190:191], -v[180:181]
	v_add_f64 v[213:214], v[164:165], v[190:191]
	v_add_f64 v[190:191], v[190:191], v[180:181]
	v_add_f64 v[215:216], v[144:145], -v[178:179]
	v_add_f64 v[144:145], v[158:159], v[186:187]
	v_add_f64 v[223:224], v[166:167], v[182:183]
	;; [unrolled: 1-line block ×3, first 2 shown]
	v_add_f64 v[231:232], v[182:183], -v[174:175]
	v_add_f64 v[182:183], v[146:147], v[150:151]
	v_add_f64 v[233:234], v[150:151], v[192:193]
	;; [unrolled: 1-line block ×6, first 2 shown]
	v_add_f64 v[219:220], v[188:189], -v[172:173]
	v_add_f64 v[188:189], v[188:189], v[172:173]
	v_add_f64 v[227:228], v[184:185], -v[176:177]
	v_add_f64 v[229:230], v[168:169], v[184:185]
	v_add_f64 v[184:185], v[184:185], v[176:177]
	v_add_f64 v[235:236], v[152:153], -v[209:210]
	v_add_f64 v[241:242], v[150:151], -v[192:193]
	v_add_f64 v[150:151], v[154:155], v[178:179]
	v_fma_f64 v[178:179], v[156:157], -0.5, v[162:163]
	v_add_f64 v[152:153], v[213:214], v[180:181]
	v_fma_f64 v[180:181], v[190:191], -0.5, v[164:165]
	v_add_f64 v[154:155], v[144:145], v[170:171]
	v_add_f64 v[144:145], v[182:183], v[192:193]
	v_fma_f64 v[192:193], v[233:234], -0.5, v[146:147]
	v_add_f64 v[146:147], v[237:238], v[209:210]
	v_fma_f64 v[209:210], v[239:240], -0.5, v[148:149]
	v_add_f64 v[156:157], v[221:222], v[172:173]
	v_add_f64 v[186:187], v[186:187], -v[170:171]
	v_fma_f64 v[190:191], v[217:218], -0.5, v[158:159]
	v_fma_f64 v[188:189], v[188:189], -0.5, v[160:161]
	v_fma_f64 v[213:214], v[225:226], -0.5, v[166:167]
	v_fma_f64 v[184:185], v[184:185], -0.5, v[168:169]
	v_fma_f64 v[162:163], v[211:212], s[4:5], v[178:179]
	v_fma_f64 v[164:165], v[215:216], s[14:15], v[180:181]
	ds_write_b128 v197, v[150:153]
	ds_write_b128 v197, v[154:157] offset:864
	v_fma_f64 v[148:149], v[235:236], s[4:5], v[192:193]
	v_fma_f64 v[152:153], v[235:236], s[14:15], v[192:193]
	;; [unrolled: 1-line block ×8, first 2 shown]
	v_add_f64 v[158:159], v[223:224], v[174:175]
	v_add_f64 v[160:161], v[229:230], v[176:177]
	v_fma_f64 v[174:175], v[219:220], s[14:15], v[190:191]
	v_fma_f64 v[176:177], v[186:187], s[4:5], v[188:189]
	;; [unrolled: 1-line block ×6, first 2 shown]
	ds_write_b128 v197, v[162:165] offset:2880
	ds_write_b128 v197, v[166:169] offset:5760
	;; [unrolled: 1-line block ×7, first 2 shown]
	s_and_saveexec_b64 s[4:5], s[0:1]
	s_cbranch_execz .LBB0_15
; %bb.14:
	ds_write_b128 v197, v[144:147] offset:2592
	ds_write_b128 v197, v[148:151] offset:5472
	;; [unrolled: 1-line block ×3, first 2 shown]
.LBB0_15:
	s_or_b64 exec, exec, s[4:5]
	v_mov_b32_e32 v156, s13
	v_addc_co_u32_e32 v171, vcc, 0, v156, vcc
	s_movk_i32 s4, 0x21c0
	v_add_co_u32_e32 v156, vcc, s4, v194
	v_addc_co_u32_e32 v157, vcc, 0, v171, vcc
	s_movk_i32 s12, 0x2000
	v_add_co_u32_e32 v162, vcc, s12, v194
	v_addc_co_u32_e32 v163, vcc, 0, v171, vcc
	s_waitcnt lgkmcnt(0)
	s_barrier
	global_load_dwordx4 v[162:165], v[162:163], off offset:448
	ds_read_b128 v[158:161], v197
	s_movk_i32 s4, 0x3000
	v_add_co_u32_e32 v170, vcc, s4, v194
	v_addc_co_u32_e32 v171, vcc, 0, v171, vcc
	s_waitcnt vmcnt(0) lgkmcnt(0)
	v_mul_f64 v[166:167], v[160:161], v[164:165]
	v_fma_f64 v[166:167], v[158:159], v[162:163], -v[166:167]
	v_mul_f64 v[158:159], v[158:159], v[164:165]
	v_fma_f64 v[168:169], v[160:161], v[162:163], v[158:159]
	global_load_dwordx4 v[162:165], v[156:157], off offset:2880
	ds_read_b128 v[158:161], v197 offset:2880
	ds_write_b128 v197, v[166:169]
	s_waitcnt vmcnt(0) lgkmcnt(1)
	v_mul_f64 v[166:167], v[160:161], v[164:165]
	v_fma_f64 v[166:167], v[158:159], v[162:163], -v[166:167]
	v_mul_f64 v[158:159], v[158:159], v[164:165]
	v_fma_f64 v[168:169], v[160:161], v[162:163], v[158:159]
	global_load_dwordx4 v[162:165], v[170:171], off offset:2112
	ds_read_b128 v[158:161], v197 offset:5760
	ds_write_b128 v197, v[166:169] offset:2880
	s_waitcnt vmcnt(0) lgkmcnt(1)
	v_mul_f64 v[166:167], v[160:161], v[164:165]
	v_fma_f64 v[166:167], v[158:159], v[162:163], -v[166:167]
	v_mul_f64 v[158:159], v[158:159], v[164:165]
	v_fma_f64 v[168:169], v[160:161], v[162:163], v[158:159]
	global_load_dwordx4 v[162:165], v[156:157], off offset:864
	ds_read_b128 v[158:161], v197 offset:864
	ds_write_b128 v197, v[166:169] offset:5760
	;; [unrolled: 8-line block ×7, first 2 shown]
	s_waitcnt vmcnt(0) lgkmcnt(1)
	v_mul_f64 v[166:167], v[160:161], v[164:165]
	v_fma_f64 v[166:167], v[158:159], v[162:163], -v[166:167]
	v_mul_f64 v[158:159], v[158:159], v[164:165]
	v_fma_f64 v[168:169], v[160:161], v[162:163], v[158:159]
	ds_write_b128 v197, v[166:169] offset:7488
	s_and_saveexec_b64 s[4:5], s[0:1]
	s_cbranch_execz .LBB0_17
; %bb.16:
	s_movk_i32 s13, 0x1000
	v_add_co_u32_e32 v166, vcc, s13, v156
	v_addc_co_u32_e32 v167, vcc, 0, v157, vcc
	global_load_dwordx4 v[158:161], v[156:157], off offset:2592
	v_add_co_u32_e32 v156, vcc, s12, v156
	v_addc_co_u32_e32 v157, vcc, 0, v157, vcc
	global_load_dwordx4 v[162:165], v[156:157], off offset:160
	s_nop 0
	global_load_dwordx4 v[166:169], v[166:167], off offset:1376
	ds_read_b128 v[170:173], v197 offset:2592
	ds_read_b128 v[174:177], v197 offset:8352
	;; [unrolled: 1-line block ×3, first 2 shown]
	s_waitcnt vmcnt(2) lgkmcnt(2)
	v_mul_f64 v[156:157], v[172:173], v[160:161]
	v_mul_f64 v[160:161], v[170:171], v[160:161]
	s_waitcnt vmcnt(1) lgkmcnt(1)
	v_mul_f64 v[182:183], v[176:177], v[164:165]
	s_waitcnt vmcnt(0) lgkmcnt(0)
	v_mul_f64 v[184:185], v[180:181], v[168:169]
	v_mul_f64 v[168:169], v[178:179], v[168:169]
	v_mul_f64 v[186:187], v[174:175], v[164:165]
	v_fma_f64 v[156:157], v[170:171], v[158:159], -v[156:157]
	v_fma_f64 v[158:159], v[172:173], v[158:159], v[160:161]
	v_fma_f64 v[160:161], v[174:175], v[162:163], -v[182:183]
	v_fma_f64 v[164:165], v[178:179], v[166:167], -v[184:185]
	v_fma_f64 v[166:167], v[180:181], v[166:167], v[168:169]
	v_fma_f64 v[162:163], v[176:177], v[162:163], v[186:187]
	ds_write_b128 v197, v[156:159] offset:2592
	ds_write_b128 v197, v[164:167] offset:5472
	;; [unrolled: 1-line block ×3, first 2 shown]
.LBB0_17:
	s_or_b64 exec, exec, s[4:5]
	s_waitcnt lgkmcnt(0)
	s_barrier
	ds_read_b128 v[184:187], v197
	ds_read_b128 v[172:175], v197 offset:864
	ds_read_b128 v[176:179], v197 offset:5760
	;; [unrolled: 1-line block ×8, first 2 shown]
	s_and_saveexec_b64 s[4:5], s[0:1]
	s_cbranch_execz .LBB0_19
; %bb.18:
	ds_read_b128 v[144:147], v197 offset:2592
	ds_read_b128 v[148:151], v197 offset:5472
	;; [unrolled: 1-line block ×3, first 2 shown]
.LBB0_19:
	s_or_b64 exec, exec, s[4:5]
	s_waitcnt lgkmcnt(4)
	v_add_f64 v[192:193], v[188:189], v[176:177]
	v_add_f64 v[211:212], v[190:191], -v[178:179]
	s_mov_b32 s4, 0xe8584caa
	s_mov_b32 s5, 0xbfebb67a
	;; [unrolled: 1-line block ×4, first 2 shown]
	v_add_f64 v[209:210], v[184:185], v[188:189]
	v_add_f64 v[213:214], v[190:191], v[178:179]
	v_fma_f64 v[192:193], v[192:193], -0.5, v[184:185]
	v_add_f64 v[215:216], v[188:189], -v[176:177]
	s_waitcnt lgkmcnt(2)
	v_add_f64 v[217:218], v[180:181], v[168:169]
	v_add_f64 v[219:220], v[182:183], v[170:171]
	;; [unrolled: 1-line block ×3, first 2 shown]
	s_waitcnt lgkmcnt(0)
	v_add_f64 v[221:222], v[148:149], -v[152:153]
	v_add_f64 v[176:177], v[209:210], v[176:177]
	v_fma_f64 v[213:214], v[213:214], -0.5, v[186:187]
	v_fma_f64 v[184:185], v[211:212], s[4:5], v[192:193]
	v_fma_f64 v[188:189], v[211:212], s[12:13], v[192:193]
	v_add_f64 v[192:193], v[172:173], v[180:181]
	v_fma_f64 v[209:210], v[217:218], -0.5, v[172:173]
	v_add_f64 v[211:212], v[182:183], -v[170:171]
	v_fma_f64 v[217:218], v[219:220], -0.5, v[174:175]
	v_add_f64 v[219:220], v[180:181], -v[168:169]
	v_add_f64 v[178:179], v[190:191], v[178:179]
	v_fma_f64 v[186:187], v[215:216], s[12:13], v[213:214]
	v_add_f64 v[182:183], v[174:175], v[182:183]
	v_add_f64 v[168:169], v[192:193], v[168:169]
	;; [unrolled: 1-line block ×3, first 2 shown]
	v_fma_f64 v[190:191], v[215:216], s[4:5], v[213:214]
	v_fma_f64 v[172:173], v[211:212], s[4:5], v[209:210]
	;; [unrolled: 1-line block ×3, first 2 shown]
	v_add_f64 v[211:212], v[164:165], v[156:157]
	v_add_f64 v[213:214], v[166:167], v[158:159]
	;; [unrolled: 1-line block ×6, first 2 shown]
	v_fma_f64 v[174:175], v[219:220], s[12:13], v[217:218]
	v_fma_f64 v[182:183], v[219:220], s[4:5], v[217:218]
	v_fma_f64 v[160:161], v[211:212], -0.5, v[160:161]
	v_add_f64 v[211:212], v[166:167], -v[158:159]
	v_add_f64 v[166:167], v[162:163], v[166:167]
	v_fma_f64 v[162:163], v[213:214], -0.5, v[162:163]
	v_add_f64 v[156:157], v[164:165], -v[156:157]
	v_fma_f64 v[217:218], v[215:216], -0.5, v[144:145]
	v_add_f64 v[219:220], v[150:151], -v[154:155]
	v_fma_f64 v[192:193], v[192:193], -0.5, v[146:147]
	v_fma_f64 v[164:165], v[211:212], s[4:5], v[160:161]
	v_fma_f64 v[213:214], v[211:212], s[12:13], v[160:161]
	v_add_f64 v[211:212], v[166:167], v[158:159]
	v_fma_f64 v[166:167], v[156:157], s[12:13], v[162:163]
	v_fma_f64 v[215:216], v[156:157], s[4:5], v[162:163]
	;; [unrolled: 1-line block ×6, first 2 shown]
	s_barrier
	ds_write_b128 v202, v[176:179]
	ds_write_b128 v202, v[184:187] offset:16
	ds_write_b128 v202, v[188:191] offset:32
	ds_write_b128 v203, v[168:171]
	ds_write_b128 v203, v[172:175] offset:16
	ds_write_b128 v203, v[180:183] offset:32
	;; [unrolled: 3-line block ×3, first 2 shown]
	s_and_saveexec_b64 s[4:5], s[0:1]
	s_cbranch_execz .LBB0_21
; %bb.20:
	v_add_f64 v[146:147], v[146:147], v[150:151]
	v_add_f64 v[144:145], v[144:145], v[148:149]
	v_lshl_add_u32 v148, v205, 4, v199
	v_add_f64 v[146:147], v[146:147], v[154:155]
	v_add_f64 v[144:145], v[144:145], v[152:153]
	ds_write_b128 v148, v[160:163] offset:16
	ds_write_b128 v148, v[144:147]
	ds_write_b128 v148, v[156:159] offset:32
.LBB0_21:
	s_or_b64 exec, exec, s[4:5]
	s_waitcnt lgkmcnt(0)
	s_barrier
	ds_read_b128 v[144:147], v197
	ds_read_b128 v[148:151], v197 offset:864
	ds_read_b128 v[152:155], v197 offset:1728
	;; [unrolled: 1-line block ×5, first 2 shown]
	s_waitcnt lgkmcnt(4)
	v_mul_f64 v[192:193], v[54:55], v[150:151]
	v_mul_f64 v[54:55], v[54:55], v[148:149]
	s_waitcnt lgkmcnt(3)
	v_mul_f64 v[202:203], v[46:47], v[154:155]
	v_mul_f64 v[46:47], v[46:47], v[152:153]
	ds_read_b128 v[176:179], v197 offset:5184
	ds_read_b128 v[180:183], v197 offset:6048
	ds_read_b128 v[184:187], v197 offset:6912
	ds_read_b128 v[188:191], v197 offset:7776
	s_mov_b32 s12, 0x134454ff
	s_mov_b32 s13, 0xbfee6f0e
	v_fma_f64 v[148:149], v[52:53], v[148:149], v[192:193]
	v_fma_f64 v[52:53], v[52:53], v[150:151], -v[54:55]
	s_waitcnt lgkmcnt(6)
	v_mul_f64 v[54:55], v[42:43], v[166:167]
	v_mul_f64 v[42:43], v[42:43], v[164:165]
	v_fma_f64 v[150:151], v[44:45], v[152:153], v[202:203]
	s_waitcnt lgkmcnt(5)
	v_mul_f64 v[152:153], v[38:39], v[170:171]
	v_fma_f64 v[44:45], v[44:45], v[154:155], -v[46:47]
	v_mul_f64 v[38:39], v[38:39], v[168:169]
	s_waitcnt lgkmcnt(4)
	v_mul_f64 v[46:47], v[66:67], v[174:175]
	s_waitcnt lgkmcnt(3)
	v_mul_f64 v[154:155], v[58:59], v[178:179]
	v_fma_f64 v[54:55], v[40:41], v[164:165], v[54:55]
	v_fma_f64 v[40:41], v[40:41], v[166:167], -v[42:43]
	v_mul_f64 v[42:43], v[66:67], v[172:173]
	v_fma_f64 v[66:67], v[36:37], v[168:169], v[152:153]
	v_add_f64 v[152:153], v[144:145], v[150:151]
	v_fma_f64 v[36:37], v[36:37], v[170:171], -v[38:39]
	v_fma_f64 v[38:39], v[64:65], v[172:173], v[46:47]
	v_fma_f64 v[46:47], v[56:57], v[176:177], v[154:155]
	s_waitcnt lgkmcnt(1)
	v_mul_f64 v[154:155], v[62:63], v[184:185]
	v_mul_f64 v[62:63], v[62:63], v[186:187]
	v_fma_f64 v[42:43], v[64:65], v[174:175], -v[42:43]
	v_mul_f64 v[58:59], v[58:59], v[176:177]
	v_add_f64 v[64:65], v[152:153], v[66:67]
	v_mul_f64 v[152:153], v[50:51], v[182:183]
	v_mul_f64 v[50:51], v[50:51], v[180:181]
	v_add_f64 v[164:165], v[66:67], v[46:47]
	v_fma_f64 v[154:155], v[60:61], v[186:187], -v[154:155]
	v_fma_f64 v[60:61], v[60:61], v[184:185], v[62:63]
	s_waitcnt lgkmcnt(0)
	v_mul_f64 v[62:63], v[70:71], v[190:191]
	v_mul_f64 v[70:71], v[70:71], v[188:189]
	v_add_f64 v[64:65], v[64:65], v[46:47]
	v_fma_f64 v[56:57], v[56:57], v[178:179], -v[58:59]
	v_fma_f64 v[58:59], v[48:49], v[180:181], v[152:153]
	v_fma_f64 v[152:153], v[164:165], -0.5, v[144:145]
	v_add_f64 v[164:165], v[44:45], -v[154:155]
	v_add_f64 v[168:169], v[150:151], -v[66:67]
	;; [unrolled: 1-line block ×3, first 2 shown]
	s_mov_b32 s5, 0x3fee6f0e
	v_add_f64 v[166:167], v[64:65], v[60:61]
	v_add_f64 v[64:65], v[150:151], v[60:61]
	s_mov_b32 s4, s12
	v_fma_f64 v[48:49], v[48:49], v[182:183], -v[50:51]
	v_fma_f64 v[50:51], v[68:69], v[188:189], v[62:63]
	v_fma_f64 v[62:63], v[68:69], v[190:191], -v[70:71]
	v_fma_f64 v[68:69], v[164:165], s[12:13], v[152:153]
	v_add_f64 v[70:71], v[36:37], -v[56:57]
	v_fma_f64 v[152:153], v[164:165], s[4:5], v[152:153]
	v_fma_f64 v[64:65], v[64:65], -0.5, v[144:145]
	v_add_f64 v[144:145], v[168:169], v[170:171]
	v_add_f64 v[168:169], v[36:37], v[56:57]
	s_mov_b32 s18, 0x4755a5e
	s_mov_b32 s19, 0xbfe2cf23
	;; [unrolled: 1-line block ×4, first 2 shown]
	v_fma_f64 v[68:69], v[70:71], s[18:19], v[68:69]
	v_fma_f64 v[152:153], v[70:71], s[14:15], v[152:153]
	;; [unrolled: 1-line block ×3, first 2 shown]
	v_add_f64 v[172:173], v[66:67], -v[150:151]
	v_add_f64 v[174:175], v[46:47], -v[60:61]
	v_add_f64 v[176:177], v[146:147], v[44:45]
	v_fma_f64 v[168:169], v[168:169], -0.5, v[146:147]
	v_add_f64 v[60:61], v[150:151], -v[60:61]
	s_mov_b32 s16, 0x372fe950
	s_mov_b32 s17, 0x3fd3c6ef
	v_fma_f64 v[150:151], v[144:145], s[16:17], v[68:69]
	v_fma_f64 v[152:153], v[144:145], s[16:17], v[152:153]
	;; [unrolled: 1-line block ×3, first 2 shown]
	v_add_f64 v[144:145], v[172:173], v[174:175]
	v_fma_f64 v[64:65], v[70:71], s[12:13], v[64:65]
	v_add_f64 v[70:71], v[176:177], v[36:37]
	v_fma_f64 v[170:171], v[60:61], s[4:5], v[168:169]
	v_add_f64 v[46:47], v[66:67], -v[46:47]
	v_add_f64 v[66:67], v[44:45], -v[36:37]
	;; [unrolled: 1-line block ×3, first 2 shown]
	v_fma_f64 v[168:169], v[60:61], s[12:13], v[168:169]
	v_add_f64 v[174:175], v[44:45], v[154:155]
	v_fma_f64 v[64:65], v[164:165], s[14:15], v[64:65]
	v_add_f64 v[70:71], v[70:71], v[56:57]
	;; [unrolled: 2-line block ×4, first 2 shown]
	v_fma_f64 v[168:169], v[46:47], s[18:19], v[168:169]
	v_fma_f64 v[146:147], v[174:175], -0.5, v[146:147]
	v_fma_f64 v[172:173], v[144:145], s[16:17], v[64:65]
	v_add_f64 v[174:175], v[70:71], v[154:155]
	v_add_f64 v[64:65], v[148:149], v[54:55]
	v_fma_f64 v[68:69], v[68:69], -0.5, v[148:149]
	v_add_f64 v[70:71], v[40:41], -v[62:63]
	v_fma_f64 v[170:171], v[66:67], s[16:17], v[170:171]
	v_fma_f64 v[168:169], v[66:67], s[16:17], v[168:169]
	;; [unrolled: 1-line block ×3, first 2 shown]
	v_add_f64 v[36:37], v[36:37], -v[44:45]
	v_add_f64 v[44:45], v[56:57], -v[154:155]
	v_fma_f64 v[46:47], v[46:47], s[4:5], v[146:147]
	v_add_f64 v[56:57], v[64:65], v[38:39]
	v_fma_f64 v[64:65], v[70:71], s[12:13], v[68:69]
	v_add_f64 v[144:145], v[42:43], -v[48:49]
	v_add_f64 v[146:147], v[54:55], -v[38:39]
	;; [unrolled: 1-line block ×3, first 2 shown]
	v_add_f64 v[176:177], v[54:55], v[50:51]
	v_add_f64 v[178:179], v[42:43], v[48:49]
	;; [unrolled: 1-line block ×3, first 2 shown]
	v_fma_f64 v[44:45], v[60:61], s[18:19], v[46:47]
	v_fma_f64 v[66:67], v[60:61], s[14:15], v[66:67]
	v_add_f64 v[46:47], v[56:57], v[58:59]
	v_fma_f64 v[56:57], v[144:145], s[18:19], v[64:65]
	v_add_f64 v[60:61], v[146:147], v[154:155]
	v_fma_f64 v[64:65], v[176:177], -0.5, v[148:149]
	v_fma_f64 v[68:69], v[70:71], s[4:5], v[68:69]
	v_fma_f64 v[146:147], v[178:179], -0.5, v[52:53]
	v_add_f64 v[148:149], v[54:55], -v[50:51]
	v_fma_f64 v[176:177], v[36:37], s[16:17], v[44:45]
	v_add_f64 v[44:45], v[40:41], v[62:63]
	v_fma_f64 v[154:155], v[36:37], s[16:17], v[66:67]
	v_fma_f64 v[66:67], v[60:61], s[16:17], v[56:57]
	v_add_f64 v[178:179], v[38:39], -v[58:59]
	v_fma_f64 v[56:57], v[144:145], s[14:15], v[68:69]
	v_add_f64 v[180:181], v[40:41], -v[42:43]
	;; [unrolled: 2-line block ×3, first 2 shown]
	v_fma_f64 v[44:45], v[44:45], -0.5, v[52:53]
	v_add_f64 v[52:53], v[52:53], v[40:41]
	v_add_f64 v[36:37], v[46:47], v[50:51]
	v_fma_f64 v[46:47], v[144:145], s[4:5], v[64:65]
	v_add_f64 v[38:39], v[38:39], -v[54:55]
	v_add_f64 v[50:51], v[58:59], -v[50:51]
	v_fma_f64 v[54:55], v[144:145], s[12:13], v[64:65]
	v_fma_f64 v[58:59], v[178:179], s[14:15], v[68:69]
	v_add_f64 v[64:65], v[180:181], v[182:183]
	v_fma_f64 v[68:69], v[178:179], s[12:13], v[44:45]
	v_add_f64 v[40:41], v[42:43], -v[40:41]
	v_add_f64 v[144:145], v[48:49], -v[62:63]
	v_fma_f64 v[44:45], v[178:179], s[4:5], v[44:45]
	v_add_f64 v[42:43], v[52:53], v[42:43]
	v_fma_f64 v[52:53], v[148:149], s[12:13], v[146:147]
	v_fma_f64 v[46:47], v[70:71], s[18:19], v[46:47]
	v_add_f64 v[38:39], v[38:39], v[50:51]
	v_fma_f64 v[50:51], v[70:71], s[14:15], v[54:55]
	v_fma_f64 v[54:55], v[64:65], s[16:17], v[58:59]
	;; [unrolled: 1-line block ×3, first 2 shown]
	v_add_f64 v[40:41], v[40:41], v[144:145]
	v_fma_f64 v[44:45], v[148:149], s[18:19], v[44:45]
	v_add_f64 v[42:43], v[42:43], v[48:49]
	v_fma_f64 v[48:49], v[178:179], s[18:19], v[52:53]
	v_fma_f64 v[52:53], v[60:61], s[16:17], v[56:57]
	;; [unrolled: 1-line block ×4, first 2 shown]
	v_mul_f64 v[50:51], v[54:55], s[18:19]
	v_fma_f64 v[56:57], v[40:41], s[16:17], v[58:59]
	v_fma_f64 v[44:45], v[40:41], s[16:17], v[44:45]
	v_add_f64 v[146:147], v[42:43], v[62:63]
	v_fma_f64 v[42:43], v[64:65], s[16:17], v[48:49]
	s_mov_b32 s20, 0x9b97f4a8
	s_mov_b32 s21, 0x3fe9e377
	v_mul_f64 v[54:55], v[54:55], s[20:21]
	v_fma_f64 v[48:49], v[66:67], s[20:21], v[50:51]
	v_mul_f64 v[50:51], v[56:57], s[12:13]
	v_mul_f64 v[58:59], v[44:45], s[12:13]
	s_mov_b32 s13, 0xbfd3c6ef
	s_mov_b32 s12, s16
	v_mul_f64 v[62:63], v[56:57], s[16:17]
	v_mul_f64 v[60:61], v[42:43], s[18:19]
	s_mov_b32 s19, 0xbfe9e377
	s_mov_b32 s18, s20
	v_mul_f64 v[44:45], v[44:45], s[12:13]
	v_mul_f64 v[42:43], v[42:43], s[18:19]
	v_fma_f64 v[54:55], v[66:67], s[14:15], v[54:55]
	v_fma_f64 v[50:51], v[46:47], s[16:17], v[50:51]
	;; [unrolled: 1-line block ×5, first 2 shown]
	v_add_f64 v[40:41], v[166:167], v[36:37]
	v_fma_f64 v[180:181], v[38:39], s[4:5], v[44:45]
	v_fma_f64 v[182:183], v[52:53], s[14:15], v[42:43]
	v_add_f64 v[42:43], v[174:175], v[146:147]
	v_add_f64 v[56:57], v[150:151], v[48:49]
	;; [unrolled: 1-line block ×9, first 2 shown]
	v_add_f64 v[144:145], v[166:167], -v[36:37]
	v_add_f64 v[146:147], v[174:175], -v[146:147]
	;; [unrolled: 1-line block ×10, first 2 shown]
	s_barrier
	ds_write_b128 v206, v[40:43]
	ds_write_b128 v206, v[56:59] offset:48
	ds_write_b128 v206, v[60:63] offset:96
	ds_write_b128 v206, v[64:67] offset:144
	ds_write_b128 v206, v[68:71] offset:192
	ds_write_b128 v206, v[144:147] offset:240
	ds_write_b128 v206, v[36:39] offset:288
	ds_write_b128 v206, v[44:47] offset:336
	ds_write_b128 v206, v[48:51] offset:384
	ds_write_b128 v206, v[52:55] offset:432
	s_waitcnt lgkmcnt(0)
	s_barrier
	ds_read_b128 v[40:43], v197
	ds_read_b128 v[144:147], v197 offset:1440
	ds_read_b128 v[68:71], v197 offset:2880
	ds_read_b128 v[64:67], v197 offset:4320
	ds_read_b128 v[60:63], v197 offset:5760
	ds_read_b128 v[56:59], v197 offset:7200
	s_and_saveexec_b64 s[4:5], s[2:3]
	s_cbranch_execz .LBB0_23
; %bb.22:
	ds_read_b128 v[36:39], v197 offset:864
	ds_read_b128 v[44:47], v197 offset:2304
	;; [unrolled: 1-line block ×6, first 2 shown]
.LBB0_23:
	s_or_b64 exec, exec, s[4:5]
	s_waitcnt lgkmcnt(3)
	v_mul_f64 v[150:151], v[86:87], v[70:71]
	v_mul_f64 v[86:87], v[86:87], v[68:69]
	;; [unrolled: 1-line block ×4, first 2 shown]
	s_waitcnt lgkmcnt(2)
	v_mul_f64 v[152:153], v[78:79], v[66:67]
	v_mul_f64 v[78:79], v[78:79], v[64:65]
	s_mov_b32 s12, 0xe8584caa
	s_mov_b32 s13, 0xbfebb67a
	v_fma_f64 v[68:69], v[84:85], v[68:69], v[150:151]
	v_fma_f64 v[70:71], v[84:85], v[70:71], -v[86:87]
	s_waitcnt lgkmcnt(1)
	v_mul_f64 v[84:85], v[74:75], v[62:63]
	v_mul_f64 v[74:75], v[74:75], v[60:61]
	v_fma_f64 v[144:145], v[88:89], v[144:145], v[148:149]
	v_fma_f64 v[88:89], v[88:89], v[146:147], -v[90:91]
	s_waitcnt lgkmcnt(0)
	v_mul_f64 v[90:91], v[110:111], v[56:57]
	v_fma_f64 v[64:65], v[76:77], v[64:65], v[152:153]
	v_mul_f64 v[86:87], v[110:111], v[58:59]
	v_fma_f64 v[66:67], v[76:77], v[66:67], -v[78:79]
	v_fma_f64 v[60:61], v[72:73], v[60:61], v[84:85]
	v_fma_f64 v[62:63], v[72:73], v[62:63], -v[74:75]
	v_mul_f64 v[72:73], v[114:115], v[50:51]
	v_mul_f64 v[76:77], v[118:119], v[44:45]
	v_fma_f64 v[58:59], v[108:109], v[58:59], -v[90:91]
	v_mul_f64 v[74:75], v[114:115], v[48:49]
	v_mul_f64 v[110:111], v[118:119], v[46:47]
	v_fma_f64 v[56:57], v[108:109], v[56:57], v[86:87]
	v_mul_f64 v[78:79], v[98:99], v[52:53]
	v_mul_f64 v[84:85], v[82:83], v[158:159]
	v_fma_f64 v[90:91], v[112:113], v[48:49], v[72:73]
	v_mul_f64 v[48:49], v[94:95], v[162:163]
	v_fma_f64 v[46:47], v[116:117], v[46:47], -v[76:77]
	v_mul_f64 v[76:77], v[98:99], v[54:55]
	v_mul_f64 v[72:73], v[94:95], v[160:161]
	v_fma_f64 v[50:51], v[112:113], v[50:51], -v[74:75]
	v_add_f64 v[74:75], v[68:69], v[60:61]
	s_mov_b32 s5, 0x3febb67a
	s_mov_b32 s4, s12
	v_fma_f64 v[98:99], v[92:93], v[160:161], v[48:49]
	v_add_f64 v[48:49], v[66:67], v[58:59]
	v_fma_f64 v[94:95], v[96:97], v[52:53], v[76:77]
	v_fma_f64 v[96:97], v[96:97], v[54:55], -v[78:79]
	v_add_f64 v[52:53], v[40:41], v[68:69]
	v_fma_f64 v[54:55], v[92:93], v[162:163], -v[72:73]
	v_fma_f64 v[40:41], v[74:75], -0.5, v[40:41]
	v_add_f64 v[72:73], v[70:71], -v[62:63]
	v_add_f64 v[76:77], v[64:65], v[56:57]
	v_fma_f64 v[48:49], v[48:49], -0.5, v[88:89]
	v_add_f64 v[78:79], v[64:65], -v[56:57]
	v_fma_f64 v[108:109], v[80:81], v[156:157], v[84:85]
	v_mul_f64 v[74:75], v[82:83], v[156:157]
	v_add_f64 v[82:83], v[70:71], v[62:63]
	v_add_f64 v[84:85], v[66:67], -v[58:59]
	v_fma_f64 v[86:87], v[72:73], s[12:13], v[40:41]
	v_fma_f64 v[76:77], v[76:77], -0.5, v[144:145]
	v_fma_f64 v[40:41], v[72:73], s[4:5], v[40:41]
	v_fma_f64 v[72:73], v[78:79], s[4:5], v[48:49]
	v_add_f64 v[70:71], v[42:43], v[70:71]
	v_add_f64 v[52:53], v[52:53], v[60:61]
	v_fma_f64 v[48:49], v[78:79], s[12:13], v[48:49]
	v_add_f64 v[60:61], v[68:69], -v[60:61]
	v_add_f64 v[64:65], v[144:145], v[64:65]
	v_fma_f64 v[68:69], v[84:85], s[12:13], v[76:77]
	v_fma_f64 v[42:43], v[82:83], -0.5, v[42:43]
	v_mul_f64 v[78:79], v[72:73], s[12:13]
	v_add_f64 v[62:63], v[70:71], v[62:63]
	v_mul_f64 v[70:71], v[72:73], 0.5
	v_fma_f64 v[76:77], v[84:85], s[4:5], v[76:77]
	v_mul_f64 v[82:83], v[48:49], s[12:13]
	v_add_f64 v[66:67], v[88:89], v[66:67]
	v_mul_f64 v[48:49], v[48:49], -0.5
	v_add_f64 v[56:57], v[64:65], v[56:57]
	v_fma_f64 v[64:65], v[68:69], 0.5, v[78:79]
	v_fma_f64 v[44:45], v[116:117], v[44:45], v[110:111]
	v_fma_f64 v[112:113], v[68:69], s[4:5], v[70:71]
	v_fma_f64 v[68:69], v[80:81], v[158:159], -v[74:75]
	v_fma_f64 v[92:93], v[76:77], -0.5, v[82:83]
	v_add_f64 v[58:59], v[66:67], v[58:59]
	v_fma_f64 v[114:115], v[76:77], s[4:5], v[48:49]
	v_add_f64 v[72:73], v[52:53], v[56:57]
	v_add_f64 v[48:49], v[90:91], v[98:99]
	v_add_f64 v[84:85], v[52:53], -v[56:57]
	v_fma_f64 v[110:111], v[60:61], s[4:5], v[42:43]
	v_add_f64 v[52:53], v[96:97], v[68:69]
	v_fma_f64 v[42:43], v[60:61], s[12:13], v[42:43]
	v_add_f64 v[76:77], v[86:87], v[64:65]
	v_add_f64 v[80:81], v[40:41], v[92:93]
	;; [unrolled: 1-line block ×3, first 2 shown]
	v_add_f64 v[88:89], v[86:87], -v[64:65]
	v_add_f64 v[56:57], v[36:37], v[90:91]
	v_add_f64 v[92:93], v[40:41], -v[92:93]
	v_fma_f64 v[36:37], v[48:49], -0.5, v[36:37]
	v_add_f64 v[40:41], v[50:51], -v[54:55]
	v_add_f64 v[60:61], v[94:95], v[108:109]
	v_add_f64 v[86:87], v[62:63], -v[58:59]
	v_fma_f64 v[58:59], v[52:53], -0.5, v[46:47]
	v_add_f64 v[62:63], v[94:95], -v[108:109]
	v_add_f64 v[48:49], v[56:57], v[98:99]
	v_add_f64 v[56:57], v[38:39], v[50:51]
	;; [unrolled: 1-line block ×3, first 2 shown]
	v_fma_f64 v[50:51], v[40:41], s[12:13], v[36:37]
	v_fma_f64 v[60:61], v[60:61], -0.5, v[44:45]
	v_add_f64 v[66:67], v[96:97], -v[68:69]
	v_fma_f64 v[52:53], v[40:41], s[4:5], v[36:37]
	v_fma_f64 v[36:37], v[62:63], s[4:5], v[58:59]
	;; [unrolled: 1-line block ×3, first 2 shown]
	v_add_f64 v[54:55], v[56:57], v[54:55]
	v_fma_f64 v[38:39], v[64:65], -0.5, v[38:39]
	v_add_f64 v[56:57], v[90:91], -v[98:99]
	v_add_f64 v[44:45], v[44:45], v[94:95]
	v_fma_f64 v[70:71], v[66:67], s[12:13], v[60:61]
	v_fma_f64 v[90:91], v[66:67], s[4:5], v[60:61]
	v_mul_f64 v[58:59], v[36:37], s[12:13]
	v_mul_f64 v[60:61], v[40:41], s[12:13]
	v_add_f64 v[46:47], v[46:47], v[96:97]
	v_mul_f64 v[36:37], v[36:37], 0.5
	v_mul_f64 v[40:41], v[40:41], -0.5
	v_fma_f64 v[62:63], v[56:57], s[4:5], v[38:39]
	v_fma_f64 v[66:67], v[56:57], s[12:13], v[38:39]
	v_add_f64 v[56:57], v[44:45], v[108:109]
	v_fma_f64 v[58:59], v[70:71], 0.5, v[58:59]
	v_fma_f64 v[60:61], v[90:91], -0.5, v[60:61]
	v_add_f64 v[64:65], v[46:47], v[68:69]
	v_fma_f64 v[68:69], v[70:71], s[4:5], v[36:37]
	v_fma_f64 v[70:71], v[90:91], s[4:5], v[40:41]
	v_add_f64 v[82:83], v[42:43], v[114:115]
	v_add_f64 v[94:95], v[42:43], -v[114:115]
	v_add_f64 v[36:37], v[48:49], -v[56:57]
	;; [unrolled: 1-line block ×7, first 2 shown]
	v_add_f64 v[78:79], v[110:111], v[112:113]
	v_add_f64 v[90:91], v[110:111], -v[112:113]
	s_barrier
	ds_write_b128 v207, v[72:75]
	ds_write_b128 v207, v[76:79] offset:480
	ds_write_b128 v207, v[80:83] offset:960
	ds_write_b128 v207, v[84:87] offset:1440
	ds_write_b128 v207, v[88:91] offset:1920
	ds_write_b128 v207, v[92:95] offset:2400
	s_and_saveexec_b64 s[4:5], s[2:3]
	s_cbranch_execz .LBB0_25
; %bb.24:
	v_add_f64 v[74:75], v[54:55], v[64:65]
	v_add_f64 v[72:73], v[48:49], v[56:57]
	;; [unrolled: 1-line block ×6, first 2 shown]
	v_mul_u32_u24_e32 v48, 0xb4, v200
	v_add_u32_e32 v48, v48, v201
	v_lshl_add_u32 v48, v48, 4, v199
	ds_write_b128 v48, v[72:75]
	ds_write_b128 v48, v[68:71] offset:480
	ds_write_b128 v48, v[64:67] offset:960
	;; [unrolled: 1-line block ×5, first 2 shown]
.LBB0_25:
	s_or_b64 exec, exec, s[4:5]
	s_waitcnt lgkmcnt(0)
	s_barrier
	ds_read_b128 v[56:59], v197
	ds_read_b128 v[52:55], v197 offset:864
	ds_read_b128 v[76:79], v197 offset:5760
	;; [unrolled: 1-line block ×8, first 2 shown]
	v_add_u32_e32 v84, 0x6c0, v208
	s_and_saveexec_b64 s[2:3], s[0:1]
	s_cbranch_execz .LBB0_27
; %bb.26:
	ds_read_b128 v[36:39], v197 offset:2592
	ds_read_b128 v[40:43], v197 offset:5472
	;; [unrolled: 1-line block ×3, first 2 shown]
.LBB0_27:
	s_or_b64 exec, exec, s[2:3]
	s_waitcnt lgkmcnt(4)
	v_mul_f64 v[85:86], v[126:127], v[82:83]
	v_mul_f64 v[87:88], v[122:123], v[78:79]
	;; [unrolled: 1-line block ×4, first 2 shown]
	s_waitcnt lgkmcnt(2)
	v_mul_f64 v[93:94], v[138:139], v[74:75]
	v_mul_f64 v[97:98], v[130:131], v[66:67]
	;; [unrolled: 1-line block ×3, first 2 shown]
	s_waitcnt lgkmcnt(0)
	v_mul_f64 v[112:113], v[134:135], v[60:61]
	v_fma_f64 v[80:81], v[124:125], v[80:81], v[85:86]
	v_fma_f64 v[76:77], v[120:121], v[76:77], v[87:88]
	v_fma_f64 v[82:83], v[124:125], v[82:83], -v[89:90]
	v_fma_f64 v[78:79], v[120:121], v[78:79], -v[91:92]
	v_mul_f64 v[85:86], v[130:131], v[64:65]
	v_mul_f64 v[87:88], v[142:143], v[70:71]
	v_fma_f64 v[91:92], v[136:137], v[72:73], v[93:94]
	v_fma_f64 v[93:94], v[128:129], v[64:65], v[97:98]
	v_mul_f64 v[108:109], v[142:143], v[68:69]
	v_mul_f64 v[110:111], v[134:135], v[62:63]
	v_add_f64 v[89:90], v[80:81], v[76:77]
	v_add_f64 v[64:65], v[56:57], v[80:81]
	;; [unrolled: 1-line block ×3, first 2 shown]
	v_fma_f64 v[74:75], v[136:137], v[74:75], -v[95:96]
	v_fma_f64 v[85:86], v[128:129], v[66:67], -v[85:86]
	v_fma_f64 v[87:88], v[140:141], v[68:69], v[87:88]
	v_add_f64 v[68:69], v[82:83], -v[78:79]
	v_add_f64 v[82:83], v[58:59], v[82:83]
	v_fma_f64 v[95:96], v[132:133], v[62:63], -v[112:113]
	v_add_f64 v[62:63], v[91:92], v[93:94]
	v_fma_f64 v[70:71], v[140:141], v[70:71], -v[108:109]
	v_fma_f64 v[66:67], v[89:90], -0.5, v[56:57]
	v_fma_f64 v[89:90], v[132:133], v[60:61], v[110:111]
	v_add_f64 v[56:57], v[64:65], v[76:77]
	v_fma_f64 v[72:73], v[72:73], -0.5, v[58:59]
	v_add_f64 v[76:77], v[80:81], -v[76:77]
	v_add_f64 v[80:81], v[52:53], v[91:92]
	v_add_f64 v[58:59], v[82:83], v[78:79]
	;; [unrolled: 1-line block ×3, first 2 shown]
	s_mov_b32 s2, 0xe8584caa
	s_mov_b32 s3, 0xbfebb67a
	s_mov_b32 s5, 0x3febb67a
	s_mov_b32 s4, s2
	v_fma_f64 v[97:98], v[62:63], -0.5, v[52:53]
	v_add_f64 v[108:109], v[74:75], -v[85:86]
	v_fma_f64 v[60:61], v[68:69], s[2:3], v[66:67]
	v_fma_f64 v[64:65], v[68:69], s[4:5], v[66:67]
	v_fma_f64 v[62:63], v[76:77], s[4:5], v[72:73]
	v_fma_f64 v[66:67], v[76:77], s[2:3], v[72:73]
	v_add_f64 v[52:53], v[80:81], v[93:94]
	v_add_f64 v[76:77], v[87:88], v[89:90]
	v_add_f64 v[80:81], v[70:71], v[95:96]
	v_add_f64 v[74:75], v[54:55], v[74:75]
	v_fma_f64 v[78:79], v[78:79], -0.5, v[54:55]
	v_add_f64 v[82:83], v[91:92], -v[93:94]
	v_fma_f64 v[68:69], v[108:109], s[2:3], v[97:98]
	v_fma_f64 v[72:73], v[108:109], s[4:5], v[97:98]
	v_add_f64 v[91:92], v[48:49], v[87:88]
	v_add_f64 v[108:109], v[50:51], v[70:71]
	v_fma_f64 v[93:94], v[76:77], -0.5, v[48:49]
	v_add_f64 v[97:98], v[70:71], -v[95:96]
	v_fma_f64 v[110:111], v[80:81], -0.5, v[50:51]
	v_add_f64 v[87:88], v[87:88], -v[89:90]
	v_add_f64 v[54:55], v[74:75], v[85:86]
	v_fma_f64 v[70:71], v[82:83], s[4:5], v[78:79]
	v_fma_f64 v[74:75], v[82:83], s[2:3], v[78:79]
	v_add_f64 v[48:49], v[91:92], v[89:90]
	v_add_f64 v[50:51], v[108:109], v[95:96]
	v_fma_f64 v[76:77], v[97:98], s[2:3], v[93:94]
	v_fma_f64 v[80:81], v[97:98], s[4:5], v[93:94]
	;; [unrolled: 1-line block ×4, first 2 shown]
	ds_write_b128 v197, v[56:59]
	ds_write_b128 v197, v[60:63] offset:2880
	ds_write_b128 v197, v[64:67] offset:5760
	;; [unrolled: 1-line block ×8, first 2 shown]
	s_and_saveexec_b64 s[12:13], s[0:1]
	s_cbranch_execz .LBB0_29
; %bb.28:
	v_mul_f64 v[48:49], v[106:107], v[40:41]
	v_mul_f64 v[50:51], v[102:103], v[44:45]
	;; [unrolled: 1-line block ×4, first 2 shown]
	v_fma_f64 v[42:43], v[104:105], v[42:43], -v[48:49]
	v_fma_f64 v[46:47], v[100:101], v[46:47], -v[50:51]
	v_fma_f64 v[40:41], v[104:105], v[40:41], v[52:53]
	v_fma_f64 v[44:45], v[100:101], v[44:45], v[54:55]
	v_add_f64 v[54:55], v[38:39], v[42:43]
	v_add_f64 v[48:49], v[42:43], v[46:47]
	v_add_f64 v[56:57], v[42:43], -v[46:47]
	v_add_f64 v[50:51], v[40:41], v[44:45]
	v_add_f64 v[52:53], v[40:41], -v[44:45]
	v_add_f64 v[40:41], v[36:37], v[40:41]
	v_fma_f64 v[48:49], v[48:49], -0.5, v[38:39]
	v_add_f64 v[38:39], v[54:55], v[46:47]
	v_fma_f64 v[50:51], v[50:51], -0.5, v[36:37]
	v_add_f64 v[36:37], v[40:41], v[44:45]
	v_fma_f64 v[46:47], v[52:53], s[4:5], v[48:49]
	v_fma_f64 v[42:43], v[52:53], s[2:3], v[48:49]
	;; [unrolled: 1-line block ×4, first 2 shown]
	ds_write_b128 v197, v[36:39] offset:2592
	ds_write_b128 v197, v[44:47] offset:5472
	;; [unrolled: 1-line block ×3, first 2 shown]
.LBB0_29:
	s_or_b64 exec, exec, s[12:13]
	s_waitcnt lgkmcnt(0)
	s_barrier
	ds_read_b128 v[36:39], v197
	ds_read_b128 v[40:43], v197 offset:864
	v_mad_u64_u32 v[44:45], s[2:3], s10, v196, 0
	v_mov_b32_e32 v54, s7
	s_waitcnt lgkmcnt(1)
	v_mul_f64 v[46:47], v[34:35], v[38:39]
	v_mul_f64 v[34:35], v[34:35], v[36:37]
	s_mul_hi_u32 s7, s8, 0xfffffece
	s_sub_i32 s7, s7, s8
	v_mad_u64_u32 v[48:49], s[2:3], s11, v196, v[45:46]
	v_fma_f64 v[36:37], v[32:33], v[36:37], v[46:47]
	v_fma_f64 v[34:35], v[32:33], v[38:39], -v[34:35]
	v_mov_b32_e32 v45, v48
	v_mad_u64_u32 v[48:49], s[2:3], s8, v198, 0
	s_mov_b32 s2, 0xc901e574
	s_mov_b32 s3, 0x3f5e573a
	v_mov_b32_e32 v32, v49
	v_mad_u64_u32 v[46:47], s[4:5], s9, v198, v[32:33]
	v_mul_f64 v[32:33], v[36:37], s[2:3]
	ds_read_b128 v[36:39], v197 offset:2880
	v_mov_b32_e32 v49, v46
	v_lshlrev_b64 v[50:51], 4, v[44:45]
	ds_read_b128 v[44:47], v197 offset:1728
	v_mul_f64 v[34:35], v[34:35], s[2:3]
	s_waitcnt lgkmcnt(1)
	v_mul_f64 v[52:53], v[2:3], v[38:39]
	v_mul_f64 v[2:3], v[2:3], v[36:37]
	v_add_co_u32_e32 v50, vcc, s6, v50
	v_lshlrev_b64 v[48:49], 4, v[48:49]
	v_addc_co_u32_e32 v51, vcc, v54, v51, vcc
	v_add_co_u32_e32 v48, vcc, v50, v48
	v_fma_f64 v[36:37], v[0:1], v[36:37], v[52:53]
	v_fma_f64 v[38:39], v[0:1], v[38:39], -v[2:3]
	ds_read_b128 v[0:3], v197 offset:5760
	v_addc_co_u32_e32 v49, vcc, v51, v49, vcc
	global_store_dwordx4 v[48:49], v[32:35], off
	s_mul_i32 s4, s9, 0xb4
	s_mul_hi_u32 s5, s8, 0xb4
	v_mul_f64 v[32:33], v[36:37], s[2:3]
	v_mul_f64 v[34:35], v[38:39], s[2:3]
	ds_read_b128 v[36:39], v197 offset:6624
	s_waitcnt lgkmcnt(1)
	v_mul_f64 v[50:51], v[6:7], v[2:3]
	v_mul_f64 v[6:7], v[6:7], v[0:1]
	s_add_i32 s5, s5, s4
	s_mul_i32 s4, s8, 0xb4
	s_lshl_b64 s[4:5], s[4:5], 4
	v_mov_b32_e32 v52, s5
	s_mul_i32 s6, s9, 0xfffffece
	s_add_i32 s7, s7, s6
	v_fma_f64 v[0:1], v[4:5], v[0:1], v[50:51]
	v_fma_f64 v[2:3], v[4:5], v[2:3], -v[6:7]
	v_mul_f64 v[4:5], v[14:15], v[42:43]
	v_mul_f64 v[6:7], v[14:15], v[40:41]
	v_add_co_u32_e32 v14, vcc, s4, v48
	v_addc_co_u32_e32 v15, vcc, v49, v52, vcc
	v_mul_f64 v[0:1], v[0:1], s[2:3]
	v_mul_f64 v[2:3], v[2:3], s[2:3]
	global_store_dwordx4 v[14:15], v[32:35], off
	v_fma_f64 v[4:5], v[12:13], v[40:41], v[4:5]
	v_add_co_u32_e32 v32, vcc, s4, v14
	v_addc_co_u32_e32 v33, vcc, v15, v52, vcc
	v_fma_f64 v[6:7], v[12:13], v[42:43], -v[6:7]
	global_store_dwordx4 v[32:33], v[0:3], off
	ds_read_b128 v[0:3], v197 offset:3744
	ds_read_b128 v[12:15], v197 offset:4608
	v_mul_f64 v[4:5], v[4:5], s[2:3]
	s_mul_i32 s6, s8, 0xfffffece
	s_lshl_b64 s[6:7], s[6:7], 4
	s_waitcnt lgkmcnt(1)
	v_mul_f64 v[34:35], v[10:11], v[2:3]
	v_mul_f64 v[10:11], v[10:11], v[0:1]
	;; [unrolled: 1-line block ×3, first 2 shown]
	v_mov_b32_e32 v40, s7
	v_fma_f64 v[0:1], v[8:9], v[0:1], v[34:35]
	v_fma_f64 v[2:3], v[8:9], v[2:3], -v[10:11]
	v_mul_f64 v[8:9], v[22:23], v[38:39]
	v_mul_f64 v[10:11], v[22:23], v[36:37]
	v_add_co_u32_e32 v22, vcc, s6, v32
	v_addc_co_u32_e32 v23, vcc, v33, v40, vcc
	global_store_dwordx4 v[22:23], v[4:7], off
	v_mul_f64 v[0:1], v[0:1], s[2:3]
	v_mul_f64 v[2:3], v[2:3], s[2:3]
	v_fma_f64 v[4:5], v[20:21], v[36:37], v[8:9]
	v_fma_f64 v[6:7], v[20:21], v[38:39], -v[10:11]
	v_mul_f64 v[8:9], v[18:19], v[46:47]
	v_mul_f64 v[10:11], v[18:19], v[44:45]
	v_add_co_u32_e32 v18, vcc, s4, v22
	v_addc_co_u32_e32 v19, vcc, v23, v52, vcc
	global_store_dwordx4 v[18:19], v[0:3], off
	s_waitcnt lgkmcnt(0)
	v_mul_f64 v[20:21], v[26:27], v[12:13]
	v_mul_f64 v[0:1], v[4:5], s[2:3]
	;; [unrolled: 1-line block ×3, first 2 shown]
	ds_read_b128 v[4:7], v197 offset:7488
	v_fma_f64 v[8:9], v[16:17], v[44:45], v[8:9]
	v_fma_f64 v[10:11], v[16:17], v[46:47], -v[10:11]
	v_mul_f64 v[16:17], v[26:27], v[14:15]
	v_add_co_u32_e32 v18, vcc, s4, v18
	s_waitcnt lgkmcnt(0)
	v_mul_f64 v[22:23], v[30:31], v[6:7]
	v_mul_f64 v[26:27], v[30:31], v[4:5]
	v_addc_co_u32_e32 v19, vcc, v19, v52, vcc
	global_store_dwordx4 v[18:19], v[0:3], off
	s_nop 0
	v_mul_f64 v[0:1], v[8:9], s[2:3]
	v_mul_f64 v[2:3], v[10:11], s[2:3]
	v_fma_f64 v[8:9], v[24:25], v[12:13], v[16:17]
	v_fma_f64 v[10:11], v[24:25], v[14:15], -v[20:21]
	v_fma_f64 v[12:13], v[28:29], v[4:5], v[22:23]
	v_fma_f64 v[14:15], v[28:29], v[6:7], -v[26:27]
	v_add_co_u32_e32 v16, vcc, s6, v18
	v_addc_co_u32_e32 v17, vcc, v19, v40, vcc
	v_mul_f64 v[4:5], v[8:9], s[2:3]
	v_mul_f64 v[6:7], v[10:11], s[2:3]
	;; [unrolled: 1-line block ×4, first 2 shown]
	global_store_dwordx4 v[16:17], v[0:3], off
	s_nop 0
	v_add_co_u32_e32 v0, vcc, s4, v16
	v_addc_co_u32_e32 v1, vcc, v17, v52, vcc
	global_store_dwordx4 v[0:1], v[4:7], off
	v_add_co_u32_e32 v0, vcc, s4, v0
	v_addc_co_u32_e32 v1, vcc, v1, v52, vcc
	global_store_dwordx4 v[0:1], v[8:11], off
	s_and_b64 exec, exec, s[0:1]
	s_cbranch_execz .LBB0_31
; %bb.30:
	s_movk_i32 s0, 0x1000
	v_add_co_u32_e32 v6, vcc, s0, v194
	v_addc_co_u32_e32 v7, vcc, 0, v195, vcc
	s_movk_i32 s0, 0x2000
	global_load_dwordx4 v[2:5], v[194:195], off offset:2592
	v_add_co_u32_e32 v10, vcc, s0, v194
	global_load_dwordx4 v[6:9], v[6:7], off offset:1376
	v_addc_co_u32_e32 v11, vcc, 0, v195, vcc
	global_load_dwordx4 v[10:13], v[10:11], off offset:160
	ds_read_b128 v[14:17], v197 offset:2592
	ds_read_b128 v[18:21], v197 offset:5472
	;; [unrolled: 1-line block ×3, first 2 shown]
	v_mov_b32_e32 v32, s7
	v_mov_b32_e32 v33, s5
	s_waitcnt vmcnt(2) lgkmcnt(2)
	v_mul_f64 v[26:27], v[16:17], v[4:5]
	v_mul_f64 v[4:5], v[14:15], v[4:5]
	s_waitcnt vmcnt(1) lgkmcnt(1)
	v_mul_f64 v[28:29], v[20:21], v[8:9]
	v_mul_f64 v[8:9], v[18:19], v[8:9]
	;; [unrolled: 3-line block ×3, first 2 shown]
	v_fma_f64 v[14:15], v[14:15], v[2:3], v[26:27]
	v_fma_f64 v[2:3], v[2:3], v[16:17], -v[4:5]
	v_fma_f64 v[4:5], v[18:19], v[6:7], v[28:29]
	v_fma_f64 v[6:7], v[6:7], v[20:21], -v[8:9]
	;; [unrolled: 2-line block ×3, first 2 shown]
	v_add_co_u32_e32 v12, vcc, s6, v0
	v_addc_co_u32_e32 v13, vcc, v1, v32, vcc
	v_mul_f64 v[0:1], v[14:15], s[2:3]
	v_mul_f64 v[2:3], v[2:3], s[2:3]
	;; [unrolled: 1-line block ×6, first 2 shown]
	v_add_co_u32_e32 v14, vcc, s4, v12
	v_addc_co_u32_e32 v15, vcc, v13, v33, vcc
	v_add_co_u32_e32 v16, vcc, s4, v14
	v_addc_co_u32_e32 v17, vcc, v15, v33, vcc
	global_store_dwordx4 v[12:13], v[0:3], off
	global_store_dwordx4 v[14:15], v[4:7], off
	;; [unrolled: 1-line block ×3, first 2 shown]
.LBB0_31:
	s_endpgm
	.section	.rodata,"a",@progbits
	.p2align	6, 0x0
	.amdhsa_kernel bluestein_single_fwd_len540_dim1_dp_op_CI_CI
		.amdhsa_group_segment_fixed_size 34560
		.amdhsa_private_segment_fixed_size 0
		.amdhsa_kernarg_size 104
		.amdhsa_user_sgpr_count 6
		.amdhsa_user_sgpr_private_segment_buffer 1
		.amdhsa_user_sgpr_dispatch_ptr 0
		.amdhsa_user_sgpr_queue_ptr 0
		.amdhsa_user_sgpr_kernarg_segment_ptr 1
		.amdhsa_user_sgpr_dispatch_id 0
		.amdhsa_user_sgpr_flat_scratch_init 0
		.amdhsa_user_sgpr_private_segment_size 0
		.amdhsa_uses_dynamic_stack 0
		.amdhsa_system_sgpr_private_segment_wavefront_offset 0
		.amdhsa_system_sgpr_workgroup_id_x 1
		.amdhsa_system_sgpr_workgroup_id_y 0
		.amdhsa_system_sgpr_workgroup_id_z 0
		.amdhsa_system_sgpr_workgroup_info 0
		.amdhsa_system_vgpr_workitem_id 0
		.amdhsa_next_free_vgpr 243
		.amdhsa_next_free_sgpr 24
		.amdhsa_reserve_vcc 1
		.amdhsa_reserve_flat_scratch 0
		.amdhsa_float_round_mode_32 0
		.amdhsa_float_round_mode_16_64 0
		.amdhsa_float_denorm_mode_32 3
		.amdhsa_float_denorm_mode_16_64 3
		.amdhsa_dx10_clamp 1
		.amdhsa_ieee_mode 1
		.amdhsa_fp16_overflow 0
		.amdhsa_exception_fp_ieee_invalid_op 0
		.amdhsa_exception_fp_denorm_src 0
		.amdhsa_exception_fp_ieee_div_zero 0
		.amdhsa_exception_fp_ieee_overflow 0
		.amdhsa_exception_fp_ieee_underflow 0
		.amdhsa_exception_fp_ieee_inexact 0
		.amdhsa_exception_int_div_zero 0
	.end_amdhsa_kernel
	.text
.Lfunc_end0:
	.size	bluestein_single_fwd_len540_dim1_dp_op_CI_CI, .Lfunc_end0-bluestein_single_fwd_len540_dim1_dp_op_CI_CI
                                        ; -- End function
	.section	.AMDGPU.csdata,"",@progbits
; Kernel info:
; codeLenInByte = 13504
; NumSgprs: 28
; NumVgprs: 243
; ScratchSize: 0
; MemoryBound: 0
; FloatMode: 240
; IeeeMode: 1
; LDSByteSize: 34560 bytes/workgroup (compile time only)
; SGPRBlocks: 3
; VGPRBlocks: 60
; NumSGPRsForWavesPerEU: 28
; NumVGPRsForWavesPerEU: 243
; Occupancy: 1
; WaveLimiterHint : 1
; COMPUTE_PGM_RSRC2:SCRATCH_EN: 0
; COMPUTE_PGM_RSRC2:USER_SGPR: 6
; COMPUTE_PGM_RSRC2:TRAP_HANDLER: 0
; COMPUTE_PGM_RSRC2:TGID_X_EN: 1
; COMPUTE_PGM_RSRC2:TGID_Y_EN: 0
; COMPUTE_PGM_RSRC2:TGID_Z_EN: 0
; COMPUTE_PGM_RSRC2:TIDIG_COMP_CNT: 0
	.type	__hip_cuid_f22d8bd2ab024c2e,@object ; @__hip_cuid_f22d8bd2ab024c2e
	.section	.bss,"aw",@nobits
	.globl	__hip_cuid_f22d8bd2ab024c2e
__hip_cuid_f22d8bd2ab024c2e:
	.byte	0                               ; 0x0
	.size	__hip_cuid_f22d8bd2ab024c2e, 1

	.ident	"AMD clang version 19.0.0git (https://github.com/RadeonOpenCompute/llvm-project roc-6.4.0 25133 c7fe45cf4b819c5991fe208aaa96edf142730f1d)"
	.section	".note.GNU-stack","",@progbits
	.addrsig
	.addrsig_sym __hip_cuid_f22d8bd2ab024c2e
	.amdgpu_metadata
---
amdhsa.kernels:
  - .args:
      - .actual_access:  read_only
        .address_space:  global
        .offset:         0
        .size:           8
        .value_kind:     global_buffer
      - .actual_access:  read_only
        .address_space:  global
        .offset:         8
        .size:           8
        .value_kind:     global_buffer
      - .actual_access:  read_only
        .address_space:  global
        .offset:         16
        .size:           8
        .value_kind:     global_buffer
      - .actual_access:  read_only
        .address_space:  global
        .offset:         24
        .size:           8
        .value_kind:     global_buffer
      - .actual_access:  read_only
        .address_space:  global
        .offset:         32
        .size:           8
        .value_kind:     global_buffer
      - .offset:         40
        .size:           8
        .value_kind:     by_value
      - .address_space:  global
        .offset:         48
        .size:           8
        .value_kind:     global_buffer
      - .address_space:  global
        .offset:         56
        .size:           8
        .value_kind:     global_buffer
      - .address_space:  global
        .offset:         64
        .size:           8
        .value_kind:     global_buffer
      - .address_space:  global
        .offset:         72
        .size:           8
        .value_kind:     global_buffer
      - .offset:         80
        .size:           4
        .value_kind:     by_value
      - .address_space:  global
        .offset:         88
        .size:           8
        .value_kind:     global_buffer
      - .address_space:  global
        .offset:         96
        .size:           8
        .value_kind:     global_buffer
    .group_segment_fixed_size: 34560
    .kernarg_segment_align: 8
    .kernarg_segment_size: 104
    .language:       OpenCL C
    .language_version:
      - 2
      - 0
    .max_flat_workgroup_size: 216
    .name:           bluestein_single_fwd_len540_dim1_dp_op_CI_CI
    .private_segment_fixed_size: 0
    .sgpr_count:     28
    .sgpr_spill_count: 0
    .symbol:         bluestein_single_fwd_len540_dim1_dp_op_CI_CI.kd
    .uniform_work_group_size: 1
    .uses_dynamic_stack: false
    .vgpr_count:     243
    .vgpr_spill_count: 0
    .wavefront_size: 64
amdhsa.target:   amdgcn-amd-amdhsa--gfx906
amdhsa.version:
  - 1
  - 2
...

	.end_amdgpu_metadata
